;; amdgpu-corpus repo=ROCm/aiter kind=harvested arch=n/a opt=n/a

/root/src/amdgpu-assembly/repos/ROCm__aiter/hsa/gfx942/fmoe_2stages/fmoe_stage1_bf16_pertokenFp8_doweight_g1u1_32x256_2tg_pf2.co:	file format elf64-amdgpu

Disassembly of section .text:

0000000000002a00 <_ZN5aiter57fmoe_stage1_bf16_pertokenFp8_doweight_g1u1_32x256_2tg_pf2E>:
	s_and_b32 s1, s1, 0xffff                                   // 000000002A00: 8601FF01 0000FFFF
	s_load_dwordx2 s[8:9], s[0:1], 0x0                         // 000000002A08: C0060200 00000000
	s_load_dwordx2 s[20:21], s[0:1], 0x10                      // 000000002A10: C0060500 00000010
	s_load_dwordx2 s[24:25], s[0:1], 0x20                      // 000000002A18: C0060600 00000020
	s_load_dwordx2 s[48:49], s[0:1], 0x30                      // 000000002A20: C0060C00 00000030
	s_load_dwordx2 s[28:29], s[0:1], 0x40                      // 000000002A28: C0060700 00000040
	s_load_dwordx2 s[32:33], s[0:1], 0x50                      // 000000002A30: C0060800 00000050
	s_load_dwordx2 s[36:37], s[0:1], 0x60                      // 000000002A38: C0060900 00000060
	s_load_dwordx2 s[12:13], s[0:1], 0x70                      // 000000002A40: C0060300 00000070
	s_load_dwordx2 s[44:45], s[0:1], 0x80                      // 000000002A48: C0060B00 00000080
	s_mov_b32 s89, 0                                           // 000000002A50: BED90080
	s_load_dword s64, s[0:1], 0x90                             // 000000002A54: C0021000 00000090
	s_load_dword s65, s[0:1], 0xa0                             // 000000002A5C: C0021040 000000A0
	s_load_dword s66, s[0:1], 0xb0                             // 000000002A64: C0021080 000000B0
	s_load_dword s67, s[0:1], 0xc0                             // 000000002A6C: C00210C0 000000C0
	s_load_dword s68, s[0:1], 0xd0                             // 000000002A74: C0021100 000000D0
	s_load_dword s69, s[0:1], 0xe0                             // 000000002A7C: C0021140 000000E0
	s_load_dword s71, s[0:1], 0xf0                             // 000000002A84: C00211C0 000000F0
	s_load_dword s72, s[0:1], 0x100                            // 000000002A8C: C0021200 00000100
	s_load_dword s74, s[0:1], 0x110                            // 000000002A94: C0021280 00000110
	s_load_dword s76, s[0:1], 0x120                            // 000000002A9C: C0021300 00000120
	s_load_dword s56, s[0:1], 0x130                            // 000000002AA4: C0020E00 00000130
	s_load_dword s88, s[0:1], 0x140                            // 000000002AAC: C0021600 00000140
	s_load_dword s89, s[0:1], 0x150                            // 000000002AB4: C0021640 00000150
	s_load_dwordx2 s[40:41], s[0:1], 0x160                     // 000000002ABC: C0060A00 00000160
	v_lshrrev_b32_e32 v1, 10, v0                               // 000000002AC4: 2002008A
	v_lshrrev_b32_e32 v2, 10, v1                               // 000000002AC8: 2004028A
	v_and_b32_e32 v2, 0x3ff, v2                                // 000000002ACC: 260404FF 000003FF
	v_and_b32_e32 v1, 0x3ff, v1                                // 000000002AD4: 260202FF 000003FF
	v_and_b32_e32 v0, 0x3ff, v0                                // 000000002ADC: 260000FF 000003FF
	v_lshrrev_b32_e32 v3, 6, v0                                // 000000002AE4: 20060086
	v_and_b32_e32 v0, 63, v0                                   // 000000002AE8: 260000BF
	s_mov_b32 s2, s2                                           // 000000002AEC: BE820002
	s_mov_b32 s3, s3                                           // 000000002AF0: BE830003
	s_mov_b32 s4, s4                                           // 000000002AF4: BE840004
	v_readfirstlane_b32 s7, v3                                 // 000000002AF8: 7E0E0503
	s_waitcnt lgkmcnt(0)                                       // 000000002AFC: BF8CC07F
	s_and_b32 s49, s49, 0xffff                                 // 000000002B00: 8631FF31 0000FFFF
	s_load_dword s48, s[48:49], 0x0                            // 000000002B08: C0020C18 00000000
	s_and_b32 s45, s45, 0xffff                                 // 000000002B10: 862DFF2D 0000FFFF
	s_and_b32 s9, s9, 0xffff                                   // 000000002B18: 8609FF09 0000FFFF
	s_mul_i32 s60, s66, s68                                    // 000000002B20: 923C4442
	s_mul_i32 s61, s66, 4                                      // 000000002B24: 923D8442
	s_mov_b32 s22, s60                                         // 000000002B28: BE96003C
	s_mov_b32 s26, -16                                         // 000000002B2C: BE9A00D0
	s_mov_b32 s30, s61                                         // 000000002B30: BE9E003D
	s_mov_b32 s14, 0x80                                        // 000000002B34: BE8E00FF 00000080
	s_mov_b32 s38, -16                                         // 000000002B3C: BEA600D0
	s_mov_b32 s10, -16                                         // 000000002B40: BE8A00D0
	s_mov_b32 s34, 0x400                                       // 000000002B44: BEA200FF 00000400
	s_mov_b32 s23, 0x20000                                     // 000000002B4C: BE9700FF 00020000
	s_mov_b32 s27, 0x20000                                     // 000000002B54: BE9B00FF 00020000
	s_mov_b32 s31, 0x20000                                     // 000000002B5C: BE9F00FF 00020000
	s_mov_b32 s35, 0x20000                                     // 000000002B64: BEA300FF 00020000
	s_mov_b32 s15, 0x20000                                     // 000000002B6C: BE8F00FF 00020000
	s_mov_b32 s39, 0x20000                                     // 000000002B74: BEA700FF 00020000
	s_mov_b32 s11, 0x20000                                     // 000000002B7C: BE8B00FF 00020000
	s_and_b32 s21, s21, 0xffff                                 // 000000002B84: 8615FF15 0000FFFF
	s_and_b32 s25, s25, 0xffff                                 // 000000002B8C: 8619FF19 0000FFFF
	s_and_b32 s29, s29, 0xffff                                 // 000000002B94: 861DFF1D 0000FFFF
	s_and_b32 s33, s33, 0xffff                                 // 000000002B9C: 8621FF21 0000FFFF
	s_and_b32 s13, s13, 0xffff                                 // 000000002BA4: 860DFF0D 0000FFFF
	s_and_b32 s37, s37, 0xffff                                 // 000000002BAC: 8625FF25 0000FFFF
	s_or_b32 s21, s21, 0x40000                                 // 000000002BB4: 8715FF15 00040000
	s_or_b32 s25, s25, 0x40000                                 // 000000002BBC: 8719FF19 00040000
	s_or_b32 s29, s29, 0x40000                                 // 000000002BC4: 871DFF1D 00040000
	s_or_b32 s33, s33, 0x40000                                 // 000000002BCC: 8721FF21 00040000
	s_or_b32 s13, s13, 0x40000                                 // 000000002BD4: 870DFF0D 00040000
	s_or_b32 s37, s37, 0x40000                                 // 000000002BDC: 8725FF25 00040000
	s_mov_b32 s42, -16                                         // 000000002BE4: BEAA00D0
	s_mov_b32 s43, 0x20000                                     // 000000002BE8: BEAB00FF 00020000
	s_and_b32 s41, s41, 0xffff                                 // 000000002BF0: 8629FF29 0000FFFF
	s_or_b32 s41, s41, 0x40000                                 // 000000002BF8: 8729FF29 00040000
	v_accvgpr_write_b32 a95, 0                                 // 000000002C00: D3D9405F 18000080
	v_mov_b32_e32 v109, 0                                      // 000000002C08: 7EDA0280
	s_waitcnt lgkmcnt(0)                                       // 000000002C0C: BF8CC07F
	s_mul_i32 s60, s3, 32                                      // 000000002C10: 923CA003
	s_cmp_lt_i32 s60, s48                                      // 000000002C14: BF04303C
	s_cbranch_scc0 label_14B5                                  // 000000002C18: BF84142B
	s_mov_b32 s80, 0                                           // 000000002C1C: BED00080
	s_lshr_b32 s81, s64, s88                                   // 000000002C20: 8F515840
	s_mul_i32 s60, s3, 4                                       // 000000002C24: 923C8403
	s_add_u32 s44, s60, s44                                    // 000000002C28: 802C2C3C
	s_addc_u32 s45, 0, s45                                     // 000000002C2C: 822D2D80
	s_load_dword s5, s[44:45], 0x0                             // 000000002C30: C0020156 00000000
	s_mul_i32 s60, s3, 32                                      // 000000002C38: 923CA003
	s_mul_i32 s60, 4, s60                                      // 000000002C3C: 923C3C84
	s_add_u32 s12, s60, s12                                    // 000000002C40: 800C0C3C
	s_addc_u32 s13, 0, s13                                     // 000000002C44: 820D0D80
	v_and_b32_e32 v4, 15, v0                                   // 000000002C48: 2608008F
	v_lshlrev_b32_e32 v4, 2, v4                                // 000000002C4C: 24080882
	buffer_load_dword v28, v4, s[12:15], 0 offen               // 000000002C50: E0501000 80031C04
	v_add_u32_e32 v4, 64, v4                                   // 000000002C58: 680808C0
	buffer_load_dword v29, v4, s[12:15], 0 offen               // 000000002C5C: E0501000 80031D04
	v_add_u32_e32 v4, 64, v4                                   // 000000002C64: 680808C0
	s_mul_i32 s60, 4, s7                                       // 000000002C68: 923C0784
	v_lshlrev_b32_e32 v4, 4, v0                                // 000000002C6C: 24080084
	v_add_u32_e32 v4, s60, v4                                  // 000000002C70: 6808083C
	buffer_load_dword v3, v4, s[12:15], 0 offen                // 000000002C74: E0501000 80030304
	v_mov_b32_e32 v44, 0                                       // 000000002C7C: 7E580280
	v_mov_b32_e32 v76, 0                                       // 000000002C80: 7E980280
	v_mov_b32_e32 v45, 0                                       // 000000002C84: 7E5A0280
	v_mov_b32_e32 v77, 0                                       // 000000002C88: 7E9A0280
	v_mov_b32_e32 v46, 0                                       // 000000002C8C: 7E5C0280
	v_mov_b32_e32 v78, 0                                       // 000000002C90: 7E9C0280
	v_mov_b32_e32 v47, 0                                       // 000000002C94: 7E5E0280
	v_mov_b32_e32 v79, 0                                       // 000000002C98: 7E9E0280
	v_mov_b32_e32 v48, 0                                       // 000000002C9C: 7E600280
	v_mov_b32_e32 v80, 0                                       // 000000002CA0: 7EA00280
	v_mov_b32_e32 v49, 0                                       // 000000002CA4: 7E620280
	v_mov_b32_e32 v81, 0                                       // 000000002CA8: 7EA20280
	v_mov_b32_e32 v50, 0                                       // 000000002CAC: 7E640280
	v_mov_b32_e32 v82, 0                                       // 000000002CB0: 7EA40280
	v_mov_b32_e32 v51, 0                                       // 000000002CB4: 7E660280
	v_mov_b32_e32 v83, 0                                       // 000000002CB8: 7EA60280
	v_mov_b32_e32 v52, 0                                       // 000000002CBC: 7E680280
	v_mov_b32_e32 v84, 0                                       // 000000002CC0: 7EA80280
	v_mov_b32_e32 v53, 0                                       // 000000002CC4: 7E6A0280
	v_mov_b32_e32 v85, 0                                       // 000000002CC8: 7EAA0280
	v_mov_b32_e32 v54, 0                                       // 000000002CCC: 7E6C0280
	v_mov_b32_e32 v86, 0                                       // 000000002CD0: 7EAC0280
	v_mov_b32_e32 v55, 0                                       // 000000002CD4: 7E6E0280
	v_mov_b32_e32 v87, 0                                       // 000000002CD8: 7EAE0280
	v_mov_b32_e32 v56, 0                                       // 000000002CDC: 7E700280
	v_mov_b32_e32 v88, 0                                       // 000000002CE0: 7EB00280
	v_mov_b32_e32 v57, 0                                       // 000000002CE4: 7E720280
	v_mov_b32_e32 v89, 0                                       // 000000002CE8: 7EB20280
	v_mov_b32_e32 v58, 0                                       // 000000002CEC: 7E740280
	v_mov_b32_e32 v90, 0                                       // 000000002CF0: 7EB40280
	v_mov_b32_e32 v59, 0                                       // 000000002CF4: 7E760280
	v_mov_b32_e32 v91, 0                                       // 000000002CF8: 7EB60280
	v_mov_b32_e32 v60, 0                                       // 000000002CFC: 7E780280
	v_mov_b32_e32 v92, 0                                       // 000000002D00: 7EB80280
	v_mov_b32_e32 v61, 0                                       // 000000002D04: 7E7A0280
	v_mov_b32_e32 v93, 0                                       // 000000002D08: 7EBA0280
	v_mov_b32_e32 v62, 0                                       // 000000002D0C: 7E7C0280
	v_mov_b32_e32 v94, 0                                       // 000000002D10: 7EBC0280
	v_mov_b32_e32 v63, 0                                       // 000000002D14: 7E7E0280
	v_mov_b32_e32 v95, 0                                       // 000000002D18: 7EBE0280
	v_mov_b32_e32 v64, 0                                       // 000000002D1C: 7E800280
	v_mov_b32_e32 v96, 0                                       // 000000002D20: 7EC00280
	v_mov_b32_e32 v65, 0                                       // 000000002D24: 7E820280
	v_mov_b32_e32 v97, 0                                       // 000000002D28: 7EC20280
	v_mov_b32_e32 v66, 0                                       // 000000002D2C: 7E840280
	v_mov_b32_e32 v98, 0                                       // 000000002D30: 7EC40280
	v_mov_b32_e32 v67, 0                                       // 000000002D34: 7E860280
	v_mov_b32_e32 v99, 0                                       // 000000002D38: 7EC60280
	v_mov_b32_e32 v68, 0                                       // 000000002D3C: 7E880280
	v_mov_b32_e32 v100, 0                                      // 000000002D40: 7EC80280
	v_mov_b32_e32 v69, 0                                       // 000000002D44: 7E8A0280
	v_mov_b32_e32 v101, 0                                      // 000000002D48: 7ECA0280
	v_mov_b32_e32 v70, 0                                       // 000000002D4C: 7E8C0280
	v_mov_b32_e32 v102, 0                                      // 000000002D50: 7ECC0280
	v_mov_b32_e32 v71, 0                                       // 000000002D54: 7E8E0280
	v_mov_b32_e32 v103, 0                                      // 000000002D58: 7ECE0280
	v_mov_b32_e32 v72, 0                                       // 000000002D5C: 7E900280
	v_mov_b32_e32 v104, 0                                      // 000000002D60: 7ED00280
	v_mov_b32_e32 v73, 0                                       // 000000002D64: 7E920280
	v_mov_b32_e32 v105, 0                                      // 000000002D68: 7ED20280
	v_mov_b32_e32 v74, 0                                       // 000000002D6C: 7E940280
	v_mov_b32_e32 v106, 0                                      // 000000002D70: 7ED40280
	v_mov_b32_e32 v75, 0                                       // 000000002D74: 7E960280
	v_mov_b32_e32 v107, 0                                      // 000000002D78: 7ED60280
	s_mul_i32 s60, s2, 0x200                                   // 000000002D7C: 923CFF02 00000200
	s_cmp_eq_u32 s88, 0                                        // 000000002D84: BF068058
	s_cselect_b32 s61, 1, 2                                    // 000000002D88: 853D8281
	s_mul_i32 s60, s60, s61                                    // 000000002D8C: 923C3D3C
	s_mov_b32 s90, s8                                          // 000000002D90: BEDA0008
	s_mov_b32 s91, s9                                          // 000000002D94: BEDB0009
	s_add_u32 s8, s60, s8                                      // 000000002D98: 8008083C
	s_addc_u32 s9, 0, s9                                       // 000000002D9C: 82090980
	v_lshrrev_b32_e32 v4, 4, v0                                // 000000002DA0: 20080084
	v_mul_lo_u32 v20, 34, v4                                   // 000000002DA4: D2850014 000208A2
	v_and_b32_e32 v4, 15, v0                                   // 000000002DAC: 2608008F
	v_mul_lo_u32 v5, 2, v4                                     // 000000002DB0: D2850005 00020882
	v_add_u32_e32 v20, v5, v20                                 // 000000002DB8: 68282905
	s_mul_i32 s60, s7, 0x88                                    // 000000002DBC: 923CFF07 00000088
	v_add_u32_e32 v20, s60, v20                                // 000000002DC4: 6828283C
	v_lshlrev_b32_e32 v20, 2, v20                              // 000000002DC8: 24282882
	v_and_b32_e32 v4, 31, v0                                   // 000000002DCC: 2608009F
	v_lshrrev_b32_e32 v4, 1, v4                                // 000000002DD0: 20080881
	v_mul_lo_u32 v21, 34, v4                                   // 000000002DD4: D2850015 000208A2
	v_lshrrev_b32_e32 v4, 5, v0                                // 000000002DDC: 20080085
	v_mul_lo_u32 v4, 8, v4                                     // 000000002DE0: D2850004 00020888
	v_add_u32_e32 v21, v21, v4                                 // 000000002DE8: 682A0915
	v_and_b32_e32 v5, 1, v0                                    // 000000002DEC: 260A0081
	v_add_u32_e32 v21, v5, v21                                 // 000000002DF0: 682A2B05
	s_mul_i32 s60, s7, 2                                       // 000000002DF4: 923C8207
	v_add_u32_e32 v21, s60, v21                                // 000000002DF8: 682A2A3C
	v_lshlrev_b32_e32 v21, 2, v21                              // 000000002DFC: 242A2A82
	s_mul_i32 s60, s7, 0x420                                   // 000000002E00: 923CFF07 00000420
	s_add_u32 s48, 0, s60                                      // 000000002E08: 80303C80
	s_add_u32 s49, 0x1080, s48                                 // 000000002E0C: 803130FF 00001080
	v_lshrrev_b32_e32 v4, 4, v0                                // 000000002E14: 20080084
	v_lshlrev_b32_e32 v5, 2, v4                                // 000000002E18: 240A0882
	v_and_b32_e32 v4, 15, v0                                   // 000000002E1C: 2608008F
	v_lshrrev_b32_e32 v6, 2, v4                                // 000000002E20: 200C0882
	v_lshlrev_b32_e32 v6, 5, v6                                // 000000002E24: 240C0C85
	v_add_u32_e32 v5, v6, v5                                   // 000000002E28: 680A0B06
	v_and_b32_e32 v4, 3, v0                                    // 000000002E2C: 26080083
	v_mul_u32_u24_e32 v6, 0x108, v4                            // 000000002E30: 100C08FF 00000108
	v_add_u32_e32 v5, v6, v5                                   // 000000002E38: 680A0B06
	v_lshlrev_b32_e32 v2, 2, v5                                // 000000002E3C: 24040A82
	s_waitcnt lgkmcnt(0)                                       // 000000002E40: BF8CC07F
	s_mul_i32 s60, s2, 0x100                                   // 000000002E44: 923CFF02 00000100
	s_mul_i32 s60, s60, s69                                    // 000000002E4C: 923C453C
	s_mul_i32 s61, s5, s72                                     // 000000002E50: 923D4805
	s_add_u32 s60, s61, s60                                    // 000000002E54: 803C3C3D
	s_add_u32 s24, s60, s24                                    // 000000002E58: 8018183C
	s_addc_u32 s25, 0, s25                                     // 000000002E5C: 82191980
	s_lshr_b32 s60, s64, s88                                   // 000000002E60: 8F3C5840
	s_mul_i32 s60, s4, s60                                     // 000000002E64: 923C3C04
	s_lshr_b32 s60, s60, 7                                     // 000000002E68: 8F3C873C
	s_mul_i32 s60, s60, 0x800                                  // 000000002E6C: 923CFF3C 00000800
	s_add_u32 s24, s60, s24                                    // 000000002E74: 8018183C
	s_addc_u32 s25, 0, s25                                     // 000000002E78: 82191980
	s_lshr_b32 s60, s69, s88                                   // 000000002E7C: 8F3C5845
	s_mul_i32 s60, s4, s60                                     // 000000002E80: 923C3C04
	s_add_u32 s20, s60, s20                                    // 000000002E84: 8014143C
	s_addc_u32 s21, 0, s21                                     // 000000002E88: 82151580
	s_mul_i32 s60, s7, 16                                      // 000000002E8C: 923C9007
	s_mul_i32 s60, s60, s69                                    // 000000002E90: 923C453C
	v_lshlrev_b32_e32 v40, 4, v0                               // 000000002E94: 24500084
	v_add_u32_e32 v40, s60, v40                                // 000000002E98: 6850503C
	s_mul_i32 s60, 64, s69                                     // 000000002E9C: 923C45C0
	v_add_u32_e32 v41, s60, v40                                // 000000002EA0: 6852503C
	v_add_u32_e32 v42, s60, v41                                // 000000002EA4: 6854523C
	v_add_u32_e32 v43, s60, v42                                // 000000002EA8: 6856543C
	s_mov_b32 s84, s24                                         // 000000002EAC: BED40018
	s_mov_b32 s85, s25                                         // 000000002EB0: BED50019
	s_mov_b32 s86, s26                                         // 000000002EB4: BED6001A
	s_mov_b32 s87, s27                                         // 000000002EB8: BED7001B
	s_mul_i32 s60, s69, s65                                    // 000000002EBC: 923C4145
	s_add_u32 s84, s60, s84                                    // 000000002EC0: 8054543C
	s_addc_u32 s85, 0, s85                                     // 000000002EC4: 82555580
	v_lshrrev_b32_e32 v4, 4, v0                                // 000000002EC8: 20080084
	v_lshlrev_b32_e32 v5, 2, v4                                // 000000002ECC: 240A0882
	v_and_b32_e32 v4, 15, v0                                   // 000000002ED0: 2608008F
	v_lshrrev_b32_e32 v6, 2, v4                                // 000000002ED4: 200C0882
	v_lshlrev_b32_e32 v6, 6, v6                                // 000000002ED8: 240C0C86
	v_add_u32_e32 v5, v6, v5                                   // 000000002EDC: 680A0B06
	v_and_b32_e32 v4, 3, v0                                    // 000000002EE0: 26080083
	v_add_u32_e32 v5, v4, v5                                   // 000000002EE4: 680A0B04
	v_lshlrev_b32_e32 v22, 2, v5                               // 000000002EE8: 242C0A82
	s_mul_i32 s60, s7, 16                                      // 000000002EEC: 923C9007
	s_mul_i32 s60, s60, 4                                      // 000000002EF0: 923C843C
	v_add_u32_e32 v22, s60, v22                                // 000000002EF4: 682C2C3C
	s_mul_i32 s60, s2, 0x100                                   // 000000002EF8: 923CFF02 00000100
	s_mul_i32 s60, s60, 4                                      // 000000002F00: 923C843C
	s_mul_i32 s61, s5, s74                                     // 000000002F04: 923D4A05
	s_add_u32 s61, s61, s60                                    // 000000002F08: 803D3C3D
	s_add_u32 s32, s61, s32                                    // 000000002F0C: 8020203D
	s_addc_u32 s33, 0, s33                                     // 000000002F10: 82212180
	s_mov_b32 s57, 0x80                                        // 000000002F14: BEB900FF 00000080
	s_mov_b32 s58, 0x800                                       // 000000002F1C: BEBA00FF 00000800
	s_mov_b32 s83, s58                                         // 000000002F24: BED3003A
	s_mov_b32 s52, 0x7060302                                   // 000000002F28: BEB400FF 07060302
	s_mov_b32 s53, 0x400                                       // 000000002F30: BEB500FF 00000400
	s_mov_b32 s54, 0x40100                                     // 000000002F38: BEB600FF 00040100
	s_mov_b32 s55, 0x4020100                                   // 000000002F40: BEB700FF 04020100
	s_mov_b32 s6, 0x3fb8aa3b                                   // 000000002F48: BE8600FF 3FB8AA3B
	s_mov_b32 s78, 0xbd92220c                                  // 000000002F50: BECE00FF BD92220C
	s_mov_b32 s79, 0xbd92220c                                  // 000000002F58: BECF00FF BD92220C
	s_mov_b32 m0, s48                                          // 000000002F60: BEFC0030
	v_mov_b32_e32 v1, 0xbfcc4231                               // 000000002F64: 7E0202FF BFCC4231
	v_mov_b32_e32 v17, 0xffff0000                              // 000000002F6C: 7E2202FF FFFF0000
	v_mov_b32_e32 v18, 0x7fff0000                              // 000000002F74: 7E2402FF 7FFF0000
	v_mov_b32_e32 v19, 0x7fff                                  // 000000002F7C: 7E2602FF 00007FFF
	s_waitcnt vmcnt(0) expcnt(0) lgkmcnt(0)                    // 000000002F84: BF8C0000
	s_mul_i32 s60, s3, 32                                      // 000000002F88: 923CA003
	s_mul_i32 s60, 4, s60                                      // 000000002F8C: 923C3C84
	s_add_u32 s40, s60, s40                                    // 000000002F90: 8028283C
	s_addc_u32 s41, 0, s41                                     // 000000002F94: 82292980
	v_and_b32_e32 v4, 15, v0                                   // 000000002F98: 2608008F
	v_lshlrev_b32_e32 v4, 2, v4                                // 000000002F9C: 24080882
	buffer_load_dword v108, v4, s[40:43], 0 offen              // 000000002FA0: E0501000 800A6C04
	buffer_load_dword v109, v4, s[40:43], 0 offen offset:64    // 000000002FA8: E0501040 800A6D04
	v_lshrrev_b32_e32 v4, 5, v0                                // 000000002FB0: 20080085
	v_xor_b32_e32 v5, 1, v4                                    // 000000002FB4: 2A0A0881
	v_readlane_b32 s82, v3, 0                                  // 000000002FB8: D2890052 00010103
	s_and_b32 s82, s82, 0xffffff                               // 000000002FC0: 8652FF52 00FFFFFF
	v_mul_lo_u32 v6, v5, s82                                   // 000000002FC8: D2850006 0000A505
	v_readlane_b32 s82, v3, 1                                  // 000000002FD0: D2890052 00010303
	s_and_b32 s82, s82, 0xffffff                               // 000000002FD8: 8652FF52 00FFFFFF
	v_mul_lo_u32 v7, v4, s82                                   // 000000002FE0: D2850007 0000A504
	v_add_u32_e32 v36, v6, v7                                  // 000000002FE8: 68480F06
	v_mul_lo_u32 v36, v36, s68                                 // 000000002FEC: D2850024 00008924
	v_readlane_b32 s82, v3, 2                                  // 000000002FF4: D2890052 00010503
	s_and_b32 s82, s82, 0xffffff                               // 000000002FFC: 8652FF52 00FFFFFF
	v_mul_lo_u32 v6, v5, s82                                   // 000000003004: D2850006 0000A505
	v_readlane_b32 s82, v3, 3                                  // 00000000300C: D2890052 00010703
	s_and_b32 s82, s82, 0xffffff                               // 000000003014: 8652FF52 00FFFFFF
	v_mul_lo_u32 v7, v4, s82                                   // 00000000301C: D2850007 0000A504
	v_add_u32_e32 v37, v6, v7                                  // 000000003024: 684A0F06
	v_mul_lo_u32 v37, v37, s68                                 // 000000003028: D2850025 00008925
	v_readlane_b32 s82, v3, 4                                  // 000000003030: D2890052 00010903
	s_and_b32 s82, s82, 0xffffff                               // 000000003038: 8652FF52 00FFFFFF
	v_mul_lo_u32 v6, v5, s82                                   // 000000003040: D2850006 0000A505
	v_readlane_b32 s82, v3, 5                                  // 000000003048: D2890052 00010B03
	s_and_b32 s82, s82, 0xffffff                               // 000000003050: 8652FF52 00FFFFFF
	v_mul_lo_u32 v7, v4, s82                                   // 000000003058: D2850007 0000A504
	v_add_u32_e32 v38, v6, v7                                  // 000000003060: 684C0F06
	v_mul_lo_u32 v38, v38, s68                                 // 000000003064: D2850026 00008926
	v_readlane_b32 s82, v3, 6                                  // 00000000306C: D2890052 00010D03
	s_and_b32 s82, s82, 0xffffff                               // 000000003074: 8652FF52 00FFFFFF
	v_mul_lo_u32 v6, v5, s82                                   // 00000000307C: D2850006 0000A505
	v_readlane_b32 s82, v3, 7                                  // 000000003084: D2890052 00010F03
	s_and_b32 s82, s82, 0xffffff                               // 00000000308C: 8652FF52 00FFFFFF
	v_mul_lo_u32 v7, v4, s82                                   // 000000003094: D2850007 0000A504
	v_add_u32_e32 v39, v6, v7                                  // 00000000309C: 684E0F06
	v_mul_lo_u32 v39, v39, s68                                 // 0000000030A0: D2850027 00008927
	v_and_b32_e32 v4, 31, v0                                   // 0000000030A8: 2608009F
	v_lshlrev_b32_e32 v4, 2, v4                                // 0000000030AC: 24080882
	v_add_u32_e32 v36, v36, v4                                 // 0000000030B0: 68480924
	v_add_u32_e32 v37, v37, v4                                 // 0000000030B4: 684A0925
	v_add_u32_e32 v38, v38, v4                                 // 0000000030B8: 684C0926
	v_add_u32_e32 v39, v39, v4                                 // 0000000030BC: 684E0927
	v_and_b32_e32 v28, 0xffffff, v28                           // 0000000030C0: 263838FF 00FFFFFF
	v_lshlrev_b32_e32 v28, 2, v28                              // 0000000030C8: 24383882
	v_and_b32_e32 v29, 0xffffff, v29                           // 0000000030CC: 263A3AFF 00FFFFFF
	v_lshlrev_b32_e32 v29, 2, v29                              // 0000000030D4: 243A3A82
	s_lshl_b32 s3, s66, 2                                      // 0000000030D8: 8E038242
	buffer_load_dword v30, v28, s[28:31], 0 offen              // 0000000030DC: E0501000 80071E1C
	buffer_load_dword v31, v29, s[28:31], 0 offen              // 0000000030E4: E0501000 80071F1D
	buffer_load_dword v24, v22, s[32:35], 0 offen              // 0000000030EC: E0501000 80081816
	s_mul_i32 s60, 4, s65                                      // 0000000030F4: 923C4184
	s_add_u32 s32, s60, s32                                    // 0000000030F8: 8020203C
	s_addc_u32 s33, 0, s33                                     // 0000000030FC: 82212180
	buffer_load_dword v26, v22, s[32:35], 0 offen              // 000000003100: E0501000 80081A16
	buffer_load_dword v36, s[20:23], 0 offen lds               // 000000003108: E0511000 80050024
	s_add_u32 m0, 0x100, s48                                   // 000000003110: 807C30FF 00000100
	buffer_load_dword v37, s[20:23], 0 offen lds               // 000000003118: E0511000 80050025
	s_add_u32 m0, 0x200, s48                                   // 000000003120: 807C30FF 00000200
	;; [unrolled: 2-line block ×3, first 2 shown]
	buffer_load_dword v39, s[20:23], 0 offen lds               // 000000003138: E0511000 80050027
	s_add_u32 m0, 0, s49                                       // 000000003140: 807C3180
	s_add_u32 s20, s57, s20                                    // 000000003144: 80141439
	s_addc_u32 s21, 0, s21                                     // 000000003148: 82151580
	buffer_load_dword v36, s[20:23], 0 offen lds               // 00000000314C: E0511000 80050024
	s_add_u32 m0, 0x100, s49                                   // 000000003154: 807C31FF 00000100
	buffer_load_dword v37, s[20:23], 0 offen lds               // 00000000315C: E0511000 80050025
	s_add_u32 m0, 0x200, s49                                   // 000000003164: 807C31FF 00000200
	buffer_load_dword v38, s[20:23], 0 offen lds               // 00000000316C: E0511000 80050026
	s_add_u32 m0, 0x300, s49                                   // 000000003174: 807C31FF 00000300
	buffer_load_dword v39, s[20:23], 0 offen lds               // 00000000317C: E0511000 80050027
	s_add_u32 m0, 0, s48                                       // 000000003184: 807C3080
	s_add_u32 s20, s57, s20                                    // 000000003188: 80141439
	s_addc_u32 s21, 0, s21                                     // 00000000318C: 82151580
	buffer_load_dwordx4 a[32:35], v40, s[24:27], 0 offen       // 000000003190: E05C1000 80862028
	buffer_load_dwordx4 a[36:39], v40, s[24:27], 0 offen offset:1024// 000000003198: E05C1400 80862428
	buffer_load_dwordx4 a[40:43], v41, s[24:27], 0 offen       // 0000000031A0: E05C1000 80862829
	buffer_load_dwordx4 a[44:47], v41, s[24:27], 0 offen offset:1024// 0000000031A8: E05C1400 80862C29
	buffer_load_dwordx4 a[48:51], v42, s[24:27], 0 offen       // 0000000031B0: E05C1000 8086302A
	buffer_load_dwordx4 a[52:55], v42, s[24:27], 0 offen offset:1024// 0000000031B8: E05C1400 8086342A
	buffer_load_dwordx4 a[56:59], v43, s[24:27], 0 offen       // 0000000031C0: E05C1000 8086382B
	buffer_load_dwordx4 a[60:63], v43, s[24:27], 0 offen offset:1024// 0000000031C8: E05C1400 80863C2B
	s_add_u32 s24, s58, s24                                    // 0000000031D0: 8018183A
	s_addc_u32 s25, 0, s25                                     // 0000000031D4: 82191980
	s_waitcnt vmcnt(12)                                        // 0000000031D8: BF8C0F7C
	s_barrier                                                  // 0000000031DC: BF8A0000
	ds_read_b128 a[0:3], v2                                    // 0000000031E0: DBFE0000 00000002
	ds_read_b128 a[4:7], v2 offset:64                          // 0000000031E8: DBFE0040 04000002
	ds_read_b128 a[8:11], v2 offset:512                        // 0000000031F0: DBFE0200 08000002
	ds_read_b128 a[12:15], v2 offset:576                       // 0000000031F8: DBFE0240 0C000002
	s_cmp_lt_i32 s7, 2                                         // 000000003200: BF048207
	s_cbranch_scc0 label_0B5D                                  // 000000003204: BF840958

0000000000003208 <label_0202>:
	s_waitcnt vmcnt(6) lgkmcnt(0)                              // 000000003208: BF8C0076
	s_barrier                                                  // 00000000320C: BF8A0000
	v_mfma_f32_16x16x32_fp8_fp8 v[44:47], a[32:33], a[0:1], v[44:47]// 000000003210: D3F3002C 1CB20120
	v_mfma_f32_16x16x32_fp8_fp8 v[44:47], a[34:35], a[2:3], v[44:47]// 000000003218: D3F3002C 1CB20522
	buffer_load_dwordx4 a[64:67], v40, s[84:87], 0 offen       // 000000003220: E05C1000 80954028
	v_mfma_f32_16x16x32_fp8_fp8 v[44:47], a[36:37], a[4:5], v[44:47]// 000000003228: D3F3002C 1CB20924
	v_mfma_f32_16x16x32_fp8_fp8 v[44:47], a[38:39], a[6:7], v[44:47]// 000000003230: D3F3002C 1CB20D26
	v_mfma_f32_16x16x32_fp8_fp8 v[48:51], a[32:33], a[8:9], v[48:51]// 000000003238: D3F30030 1CC21120
	v_mfma_f32_16x16x32_fp8_fp8 v[48:51], a[34:35], a[10:11], v[48:51]// 000000003240: D3F30030 1CC21522
	buffer_load_dwordx4 a[68:71], v40, s[84:87], 0 offen offset:1024// 000000003248: E05C1400 80954428
	v_mfma_f32_16x16x32_fp8_fp8 v[48:51], a[36:37], a[12:13], v[48:51]// 000000003250: D3F30030 1CC21924
	v_mfma_f32_16x16x32_fp8_fp8 v[48:51], a[38:39], a[14:15], v[48:51]// 000000003258: D3F30030 1CC21D26
	s_waitcnt vmcnt(6)                                         // 000000003260: BF8C0F76
	v_mfma_f32_16x16x32_fp8_fp8 v[52:55], a[40:41], a[0:1], v[52:55]// 000000003264: D3F30034 1CD20128
	v_mfma_f32_16x16x32_fp8_fp8 v[52:55], a[42:43], a[2:3], v[52:55]// 00000000326C: D3F30034 1CD2052A
	buffer_load_dwordx4 a[72:75], v41, s[84:87], 0 offen       // 000000003274: E05C1000 80954829
	v_mfma_f32_16x16x32_fp8_fp8 v[52:55], a[44:45], a[4:5], v[52:55]// 00000000327C: D3F30034 1CD2092C
	v_mfma_f32_16x16x32_fp8_fp8 v[52:55], a[46:47], a[6:7], v[52:55]// 000000003284: D3F30034 1CD20D2E
	v_mfma_f32_16x16x32_fp8_fp8 v[56:59], a[40:41], a[8:9], v[56:59]// 00000000328C: D3F30038 1CE21128
	v_mfma_f32_16x16x32_fp8_fp8 v[56:59], a[42:43], a[10:11], v[56:59]// 000000003294: D3F30038 1CE2152A
	buffer_load_dwordx4 a[76:79], v41, s[84:87], 0 offen offset:1024// 00000000329C: E05C1400 80954C29
	v_mfma_f32_16x16x32_fp8_fp8 v[56:59], a[44:45], a[12:13], v[56:59]// 0000000032A4: D3F30038 1CE2192C
	v_mfma_f32_16x16x32_fp8_fp8 v[56:59], a[46:47], a[14:15], v[56:59]// 0000000032AC: D3F30038 1CE21D2E
	s_waitcnt vmcnt(6)                                         // 0000000032B4: BF8C0F76
	v_mfma_f32_16x16x32_fp8_fp8 v[60:63], a[48:49], a[0:1], v[60:63]// 0000000032B8: D3F3003C 1CF20130
	v_mfma_f32_16x16x32_fp8_fp8 v[60:63], a[50:51], a[2:3], v[60:63]// 0000000032C0: D3F3003C 1CF20532
	buffer_load_dwordx4 a[80:83], v42, s[84:87], 0 offen       // 0000000032C8: E05C1000 8095502A
	v_mfma_f32_16x16x32_fp8_fp8 v[60:63], a[52:53], a[4:5], v[60:63]// 0000000032D0: D3F3003C 1CF20934
	v_mfma_f32_16x16x32_fp8_fp8 v[60:63], a[54:55], a[6:7], v[60:63]// 0000000032D8: D3F3003C 1CF20D36
	v_mfma_f32_16x16x32_fp8_fp8 v[64:67], a[48:49], a[8:9], v[64:67]// 0000000032E0: D3F30040 1D021130
	v_mfma_f32_16x16x32_fp8_fp8 v[64:67], a[50:51], a[10:11], v[64:67]// 0000000032E8: D3F30040 1D021532
	buffer_load_dwordx4 a[84:87], v42, s[84:87], 0 offen offset:1024// 0000000032F0: E05C1400 8095542A
	v_mfma_f32_16x16x32_fp8_fp8 v[64:67], a[52:53], a[12:13], v[64:67]// 0000000032F8: D3F30040 1D021934
	v_mfma_f32_16x16x32_fp8_fp8 v[64:67], a[54:55], a[14:15], v[64:67]// 000000003300: D3F30040 1D021D36
	s_waitcnt vmcnt(6)                                         // 000000003308: BF8C0F76
	v_mfma_f32_16x16x32_fp8_fp8 v[68:71], a[56:57], a[0:1], v[68:71]// 00000000330C: D3F30044 1D120138
	v_mfma_f32_16x16x32_fp8_fp8 v[68:71], a[58:59], a[2:3], v[68:71]// 000000003314: D3F30044 1D12053A
	buffer_load_dwordx4 a[88:91], v43, s[84:87], 0 offen       // 00000000331C: E05C1000 8095582B
	v_mfma_f32_16x16x32_fp8_fp8 v[68:71], a[60:61], a[4:5], v[68:71]// 000000003324: D3F30044 1D12093C
	v_mfma_f32_16x16x32_fp8_fp8 v[68:71], a[62:63], a[6:7], v[68:71]// 00000000332C: D3F30044 1D120D3E
	v_mfma_f32_16x16x32_fp8_fp8 v[72:75], a[56:57], a[8:9], v[72:75]// 000000003334: D3F30048 1D221138
	v_mfma_f32_16x16x32_fp8_fp8 v[72:75], a[58:59], a[10:11], v[72:75]// 00000000333C: D3F30048 1D22153A
	buffer_load_dwordx4 a[92:95], v43, s[84:87], 0 offen offset:1024// 000000003344: E05C1400 80955C2B
	buffer_load_dword v36, s[20:23], 0 offen lds               // 00000000334C: E0511000 80050024
	s_add_u32 m0, 0x100, s48                                   // 000000003354: 807C30FF 00000100
	s_add_u32 s60, 0x80, s80                                   // 00000000335C: 803C50FF 00000080
	s_cmp_lt_u32 s60, s81                                      // 000000003364: BF0A513C
	s_cselect_b32 s83, s83, 0                                  // 000000003368: 85538053
	v_mfma_f32_16x16x32_fp8_fp8 v[72:75], a[60:61], a[12:13], v[72:75]// 00000000336C: D3F30048 1D22193C
	v_mfma_f32_16x16x32_fp8_fp8 v[72:75], a[62:63], a[14:15], v[72:75]// 000000003374: D3F30048 1D221D3E
	buffer_load_dword v37, s[20:23], 0 offen lds               // 00000000337C: E0511000 80050025
	s_add_u32 m0, 0x200, s48                                   // 000000003384: 807C30FF 00000200
	buffer_load_dword v38, s[20:23], 0 offen lds               // 00000000338C: E0511000 80050026
	s_add_u32 m0, 0x300, s48                                   // 000000003394: 807C30FF 00000300
	buffer_load_dword v39, s[20:23], 0 offen lds               // 00000000339C: E0511000 80050027
	s_add_u32 m0, 0, s49                                       // 0000000033A4: 807C3180
	s_waitcnt vmcnt(4)                                         // 0000000033A8: BF8C0F74
	v_mfma_f32_16x16x32_fp8_fp8 v[76:79], a[64:65], a[0:1], v[76:79]// 0000000033AC: D3F3004C 1D320140
	v_mfma_f32_16x16x32_fp8_fp8 v[76:79], a[66:67], a[2:3], v[76:79]// 0000000033B4: D3F3004C 1D320542
	buffer_load_dwordx4 a[32:35], v40, s[24:27], 0 offen       // 0000000033BC: E05C1000 80862028
	v_mfma_f32_16x16x32_fp8_fp8 v[76:79], a[68:69], a[4:5], v[76:79]// 0000000033C4: D3F3004C 1D320944
	v_mfma_f32_16x16x32_fp8_fp8 v[76:79], a[70:71], a[6:7], v[76:79]// 0000000033CC: D3F3004C 1D320D46
	ds_read_b128 a[16:19], v2 offset:4224                      // 0000000033D4: DBFE1080 10000002
	ds_read_b128 a[20:23], v2 offset:4288                      // 0000000033DC: DBFE10C0 14000002
	v_mfma_f32_16x16x32_fp8_fp8 v[84:87], a[72:73], a[0:1], v[84:87]// 0000000033E4: D3F30054 1D520148
	v_mfma_f32_16x16x32_fp8_fp8 v[84:87], a[74:75], a[2:3], v[84:87]// 0000000033EC: D3F30054 1D52054A
	buffer_load_dwordx4 a[36:39], v40, s[24:27], 0 offen offset:1024// 0000000033F4: E05C1400 80862428
	v_mfma_f32_16x16x32_fp8_fp8 v[84:87], a[76:77], a[4:5], v[84:87]// 0000000033FC: D3F30054 1D52094C
	v_mfma_f32_16x16x32_fp8_fp8 v[84:87], a[78:79], a[6:7], v[84:87]// 000000003404: D3F30054 1D520D4E
	ds_read_b128 a[24:27], v2 offset:4736                      // 00000000340C: DBFE1280 18000002
	ds_read_b128 a[28:31], v2 offset:4800                      // 000000003414: DBFE12C0 1C000002
	v_mfma_f32_16x16x32_fp8_fp8 v[92:95], a[80:81], a[0:1], v[92:95]// 00000000341C: D3F3005C 1D720150
	v_mfma_f32_16x16x32_fp8_fp8 v[92:95], a[82:83], a[2:3], v[92:95]// 000000003424: D3F3005C 1D720552
	buffer_load_dwordx4 a[40:43], v41, s[24:27], 0 offen       // 00000000342C: E05C1000 80862829
	v_mfma_f32_16x16x32_fp8_fp8 v[92:95], a[84:85], a[4:5], v[92:95]// 000000003434: D3F3005C 1D720954
	v_mfma_f32_16x16x32_fp8_fp8 v[92:95], a[86:87], a[6:7], v[92:95]// 00000000343C: D3F3005C 1D720D56
	v_mfma_f32_16x16x32_fp8_fp8 v[100:103], a[88:89], a[0:1], v[100:103]// 000000003444: D3F30064 1D920158
	v_mfma_f32_16x16x32_fp8_fp8 v[100:103], a[90:91], a[2:3], v[100:103]// 00000000344C: D3F30064 1D92055A
	buffer_load_dwordx4 a[44:47], v41, s[24:27], 0 offen offset:1024// 000000003454: E05C1400 80862C29
	v_mfma_f32_16x16x32_fp8_fp8 v[100:103], a[92:93], a[4:5], v[100:103]// 00000000345C: D3F30064 1D92095C
	v_mfma_f32_16x16x32_fp8_fp8 v[100:103], a[94:95], a[6:7], v[100:103]// 000000003464: D3F30064 1D920D5E
	v_mfma_f32_16x16x32_fp8_fp8 v[80:83], a[64:65], a[8:9], v[80:83]// 00000000346C: D3F30050 1D421140
	v_mfma_f32_16x16x32_fp8_fp8 v[80:83], a[66:67], a[10:11], v[80:83]// 000000003474: D3F30050 1D421542
	buffer_load_dwordx4 a[48:51], v42, s[24:27], 0 offen       // 00000000347C: E05C1000 8086302A
	v_mfma_f32_16x16x32_fp8_fp8 v[80:83], a[68:69], a[12:13], v[80:83]// 000000003484: D3F30050 1D421944
	v_mfma_f32_16x16x32_fp8_fp8 v[80:83], a[70:71], a[14:15], v[80:83]// 00000000348C: D3F30050 1D421D46
	v_mfma_f32_16x16x32_fp8_fp8 v[88:91], a[72:73], a[8:9], v[88:91]// 000000003494: D3F30058 1D621148
	v_mfma_f32_16x16x32_fp8_fp8 v[88:91], a[74:75], a[10:11], v[88:91]// 00000000349C: D3F30058 1D62154A
	buffer_load_dwordx4 a[52:55], v42, s[24:27], 0 offen offset:1024// 0000000034A4: E05C1400 8086342A
	v_mfma_f32_16x16x32_fp8_fp8 v[88:91], a[76:77], a[12:13], v[88:91]// 0000000034AC: D3F30058 1D62194C
	v_mfma_f32_16x16x32_fp8_fp8 v[88:91], a[78:79], a[14:15], v[88:91]// 0000000034B4: D3F30058 1D621D4E
	v_mfma_f32_16x16x32_fp8_fp8 v[96:99], a[80:81], a[8:9], v[96:99]// 0000000034BC: D3F30060 1D821150
	v_mfma_f32_16x16x32_fp8_fp8 v[96:99], a[82:83], a[10:11], v[96:99]// 0000000034C4: D3F30060 1D821552
	buffer_load_dwordx4 a[56:59], v43, s[24:27], 0 offen       // 0000000034CC: E05C1000 8086382B
	v_mfma_f32_16x16x32_fp8_fp8 v[96:99], a[84:85], a[12:13], v[96:99]// 0000000034D4: D3F30060 1D821954
	s_add_u32 s60, 0x180, s80                                  // 0000000034DC: 803C50FF 00000180
	s_cmp_lt_u32 s60, s81                                      // 0000000034E4: BF0A513C
	s_cselect_b32 s57, s57, 0                                  // 0000000034E8: 85398039
	v_mfma_f32_16x16x32_fp8_fp8 v[96:99], a[86:87], a[14:15], v[96:99]// 0000000034EC: D3F30060 1D821D56
	s_add_u32 s60, 0x100, s80                                  // 0000000034F4: 803C50FF 00000100
	s_cmp_lt_u32 s60, s81                                      // 0000000034FC: BF0A513C
	s_cselect_b32 s58, s58, 0                                  // 000000003500: 853A803A
	v_mfma_f32_16x16x32_fp8_fp8 v[104:107], a[88:89], a[8:9], v[104:107]// 000000003504: D3F30068 1DA21158
	v_mfma_f32_16x16x32_fp8_fp8 v[104:107], a[90:91], a[10:11], v[104:107]// 00000000350C: D3F30068 1DA2155A
	buffer_load_dwordx4 a[60:63], v43, s[24:27], 0 offen offset:1024// 000000003514: E05C1400 80863C2B
	s_add_u32 s20, s57, s20                                    // 00000000351C: 80141439
	s_addc_u32 s21, 0, s21                                     // 000000003520: 82151580
	v_mfma_f32_16x16x32_fp8_fp8 v[104:107], a[92:93], a[12:13], v[104:107]// 000000003524: D3F30068 1DA2195C
	s_add_u32 s84, s83, s84                                    // 00000000352C: 80545453
	s_addc_u32 s85, 0, s85                                     // 000000003530: 82555580
	v_mfma_f32_16x16x32_fp8_fp8 v[104:107], a[94:95], a[14:15], v[104:107]// 000000003534: D3F30068 1DA21D5E
	s_add_u32 s24, s58, s24                                    // 00000000353C: 8018183A
	s_addc_u32 s25, 0, s25                                     // 000000003540: 82191980
	s_addk_i32 s80, 0x80                                       // 000000003544: B7500080
	s_cmp_lt_i32 s80, s81                                      // 000000003548: BF045150
	s_cbranch_scc0 label_03A7                                  // 00000000354C: BF8400D3
	s_waitcnt vmcnt(6) lgkmcnt(0)                              // 000000003550: BF8C0076
	s_barrier                                                  // 000000003554: BF8A0000
	v_mfma_f32_16x16x32_fp8_fp8 v[44:47], a[32:33], a[16:17], v[44:47]// 000000003558: D3F3002C 1CB22120
	v_mfma_f32_16x16x32_fp8_fp8 v[44:47], a[34:35], a[18:19], v[44:47]// 000000003560: D3F3002C 1CB22522
	buffer_load_dwordx4 a[64:67], v40, s[84:87], 0 offen       // 000000003568: E05C1000 80954028
	v_mfma_f32_16x16x32_fp8_fp8 v[44:47], a[36:37], a[20:21], v[44:47]// 000000003570: D3F3002C 1CB22924
	v_mfma_f32_16x16x32_fp8_fp8 v[44:47], a[38:39], a[22:23], v[44:47]// 000000003578: D3F3002C 1CB22D26
	v_mfma_f32_16x16x32_fp8_fp8 v[48:51], a[32:33], a[24:25], v[48:51]// 000000003580: D3F30030 1CC23120
	v_mfma_f32_16x16x32_fp8_fp8 v[48:51], a[34:35], a[26:27], v[48:51]// 000000003588: D3F30030 1CC23522
	buffer_load_dwordx4 a[68:71], v40, s[84:87], 0 offen offset:1024// 000000003590: E05C1400 80954428
	v_mfma_f32_16x16x32_fp8_fp8 v[48:51], a[36:37], a[28:29], v[48:51]// 000000003598: D3F30030 1CC23924
	v_mfma_f32_16x16x32_fp8_fp8 v[48:51], a[38:39], a[30:31], v[48:51]// 0000000035A0: D3F30030 1CC23D26
	s_waitcnt vmcnt(6)                                         // 0000000035A8: BF8C0F76
	v_mfma_f32_16x16x32_fp8_fp8 v[52:55], a[40:41], a[16:17], v[52:55]// 0000000035AC: D3F30034 1CD22128
	v_mfma_f32_16x16x32_fp8_fp8 v[52:55], a[42:43], a[18:19], v[52:55]// 0000000035B4: D3F30034 1CD2252A
	buffer_load_dwordx4 a[72:75], v41, s[84:87], 0 offen       // 0000000035BC: E05C1000 80954829
	v_mfma_f32_16x16x32_fp8_fp8 v[52:55], a[44:45], a[20:21], v[52:55]// 0000000035C4: D3F30034 1CD2292C
	v_mfma_f32_16x16x32_fp8_fp8 v[52:55], a[46:47], a[22:23], v[52:55]// 0000000035CC: D3F30034 1CD22D2E
	v_mfma_f32_16x16x32_fp8_fp8 v[56:59], a[40:41], a[24:25], v[56:59]// 0000000035D4: D3F30038 1CE23128
	v_mfma_f32_16x16x32_fp8_fp8 v[56:59], a[42:43], a[26:27], v[56:59]// 0000000035DC: D3F30038 1CE2352A
	buffer_load_dwordx4 a[76:79], v41, s[84:87], 0 offen offset:1024// 0000000035E4: E05C1400 80954C29
	v_mfma_f32_16x16x32_fp8_fp8 v[56:59], a[44:45], a[28:29], v[56:59]// 0000000035EC: D3F30038 1CE2392C
	v_mfma_f32_16x16x32_fp8_fp8 v[56:59], a[46:47], a[30:31], v[56:59]// 0000000035F4: D3F30038 1CE23D2E
	s_waitcnt vmcnt(6)                                         // 0000000035FC: BF8C0F76
	v_mfma_f32_16x16x32_fp8_fp8 v[60:63], a[48:49], a[16:17], v[60:63]// 000000003600: D3F3003C 1CF22130
	v_mfma_f32_16x16x32_fp8_fp8 v[60:63], a[50:51], a[18:19], v[60:63]// 000000003608: D3F3003C 1CF22532
	buffer_load_dwordx4 a[80:83], v42, s[84:87], 0 offen       // 000000003610: E05C1000 8095502A
	v_mfma_f32_16x16x32_fp8_fp8 v[60:63], a[52:53], a[20:21], v[60:63]// 000000003618: D3F3003C 1CF22934
	v_mfma_f32_16x16x32_fp8_fp8 v[60:63], a[54:55], a[22:23], v[60:63]// 000000003620: D3F3003C 1CF22D36
	v_mfma_f32_16x16x32_fp8_fp8 v[64:67], a[48:49], a[24:25], v[64:67]// 000000003628: D3F30040 1D023130
	v_mfma_f32_16x16x32_fp8_fp8 v[64:67], a[50:51], a[26:27], v[64:67]// 000000003630: D3F30040 1D023532
	buffer_load_dwordx4 a[84:87], v42, s[84:87], 0 offen offset:1024// 000000003638: E05C1400 8095542A
	v_mfma_f32_16x16x32_fp8_fp8 v[64:67], a[52:53], a[28:29], v[64:67]// 000000003640: D3F30040 1D023934
	v_mfma_f32_16x16x32_fp8_fp8 v[64:67], a[54:55], a[30:31], v[64:67]// 000000003648: D3F30040 1D023D36
	s_waitcnt vmcnt(6)                                         // 000000003650: BF8C0F76
	v_mfma_f32_16x16x32_fp8_fp8 v[68:71], a[56:57], a[16:17], v[68:71]// 000000003654: D3F30044 1D122138
	v_mfma_f32_16x16x32_fp8_fp8 v[68:71], a[58:59], a[18:19], v[68:71]// 00000000365C: D3F30044 1D12253A
	buffer_load_dwordx4 a[88:91], v43, s[84:87], 0 offen       // 000000003664: E05C1000 8095582B
	v_mfma_f32_16x16x32_fp8_fp8 v[68:71], a[60:61], a[20:21], v[68:71]// 00000000366C: D3F30044 1D12293C
	v_mfma_f32_16x16x32_fp8_fp8 v[68:71], a[62:63], a[22:23], v[68:71]// 000000003674: D3F30044 1D122D3E
	v_mfma_f32_16x16x32_fp8_fp8 v[72:75], a[56:57], a[24:25], v[72:75]// 00000000367C: D3F30048 1D223138
	v_mfma_f32_16x16x32_fp8_fp8 v[72:75], a[58:59], a[26:27], v[72:75]// 000000003684: D3F30048 1D22353A
	buffer_load_dwordx4 a[92:95], v43, s[84:87], 0 offen offset:1024// 00000000368C: E05C1400 80955C2B
	buffer_load_dword v36, s[20:23], 0 offen lds               // 000000003694: E0511000 80050024
	s_add_u32 m0, 0x100, s49                                   // 00000000369C: 807C31FF 00000100
	s_add_u32 s60, 0x80, s80                                   // 0000000036A4: 803C50FF 00000080
	s_cmp_lt_u32 s60, s81                                      // 0000000036AC: BF0A513C
	s_cselect_b32 s83, s83, 0                                  // 0000000036B0: 85538053
	v_mfma_f32_16x16x32_fp8_fp8 v[72:75], a[60:61], a[28:29], v[72:75]// 0000000036B4: D3F30048 1D22393C
	v_mfma_f32_16x16x32_fp8_fp8 v[72:75], a[62:63], a[30:31], v[72:75]// 0000000036BC: D3F30048 1D223D3E
	buffer_load_dword v37, s[20:23], 0 offen lds               // 0000000036C4: E0511000 80050025
	s_add_u32 m0, 0x200, s49                                   // 0000000036CC: 807C31FF 00000200
	buffer_load_dword v38, s[20:23], 0 offen lds               // 0000000036D4: E0511000 80050026
	s_add_u32 m0, 0x300, s49                                   // 0000000036DC: 807C31FF 00000300
	buffer_load_dword v39, s[20:23], 0 offen lds               // 0000000036E4: E0511000 80050027
	s_add_u32 m0, 0, s48                                       // 0000000036EC: 807C3080
	s_waitcnt vmcnt(4)                                         // 0000000036F0: BF8C0F74
	v_mfma_f32_16x16x32_fp8_fp8 v[76:79], a[64:65], a[16:17], v[76:79]// 0000000036F4: D3F3004C 1D322140
	v_mfma_f32_16x16x32_fp8_fp8 v[76:79], a[66:67], a[18:19], v[76:79]// 0000000036FC: D3F3004C 1D322542
	buffer_load_dwordx4 a[32:35], v40, s[24:27], 0 offen       // 000000003704: E05C1000 80862028
	v_mfma_f32_16x16x32_fp8_fp8 v[76:79], a[68:69], a[20:21], v[76:79]// 00000000370C: D3F3004C 1D322944
	v_mfma_f32_16x16x32_fp8_fp8 v[76:79], a[70:71], a[22:23], v[76:79]// 000000003714: D3F3004C 1D322D46
	ds_read_b128 a[0:3], v2                                    // 00000000371C: DBFE0000 00000002
	ds_read_b128 a[4:7], v2 offset:64                          // 000000003724: DBFE0040 04000002
	v_mfma_f32_16x16x32_fp8_fp8 v[84:87], a[72:73], a[16:17], v[84:87]// 00000000372C: D3F30054 1D522148
	v_mfma_f32_16x16x32_fp8_fp8 v[84:87], a[74:75], a[18:19], v[84:87]// 000000003734: D3F30054 1D52254A
	buffer_load_dwordx4 a[36:39], v40, s[24:27], 0 offen offset:1024// 00000000373C: E05C1400 80862428
	v_mfma_f32_16x16x32_fp8_fp8 v[84:87], a[76:77], a[20:21], v[84:87]// 000000003744: D3F30054 1D52294C
	v_mfma_f32_16x16x32_fp8_fp8 v[84:87], a[78:79], a[22:23], v[84:87]// 00000000374C: D3F30054 1D522D4E
	ds_read_b128 a[8:11], v2 offset:512                        // 000000003754: DBFE0200 08000002
	ds_read_b128 a[12:15], v2 offset:576                       // 00000000375C: DBFE0240 0C000002
	v_mfma_f32_16x16x32_fp8_fp8 v[92:95], a[80:81], a[16:17], v[92:95]// 000000003764: D3F3005C 1D722150
	v_mfma_f32_16x16x32_fp8_fp8 v[92:95], a[82:83], a[18:19], v[92:95]// 00000000376C: D3F3005C 1D722552
	buffer_load_dwordx4 a[40:43], v41, s[24:27], 0 offen       // 000000003774: E05C1000 80862829
	v_mfma_f32_16x16x32_fp8_fp8 v[92:95], a[84:85], a[20:21], v[92:95]// 00000000377C: D3F3005C 1D722954
	v_mfma_f32_16x16x32_fp8_fp8 v[92:95], a[86:87], a[22:23], v[92:95]// 000000003784: D3F3005C 1D722D56
	v_mfma_f32_16x16x32_fp8_fp8 v[100:103], a[88:89], a[16:17], v[100:103]// 00000000378C: D3F30064 1D922158
	v_mfma_f32_16x16x32_fp8_fp8 v[100:103], a[90:91], a[18:19], v[100:103]// 000000003794: D3F30064 1D92255A
	buffer_load_dwordx4 a[44:47], v41, s[24:27], 0 offen offset:1024// 00000000379C: E05C1400 80862C29
	v_mfma_f32_16x16x32_fp8_fp8 v[100:103], a[92:93], a[20:21], v[100:103]// 0000000037A4: D3F30064 1D92295C
	v_mfma_f32_16x16x32_fp8_fp8 v[100:103], a[94:95], a[22:23], v[100:103]// 0000000037AC: D3F30064 1D922D5E
	v_mfma_f32_16x16x32_fp8_fp8 v[80:83], a[64:65], a[24:25], v[80:83]// 0000000037B4: D3F30050 1D423140
	v_mfma_f32_16x16x32_fp8_fp8 v[80:83], a[66:67], a[26:27], v[80:83]// 0000000037BC: D3F30050 1D423542
	buffer_load_dwordx4 a[48:51], v42, s[24:27], 0 offen       // 0000000037C4: E05C1000 8086302A
	v_mfma_f32_16x16x32_fp8_fp8 v[80:83], a[68:69], a[28:29], v[80:83]// 0000000037CC: D3F30050 1D423944
	v_mfma_f32_16x16x32_fp8_fp8 v[80:83], a[70:71], a[30:31], v[80:83]// 0000000037D4: D3F30050 1D423D46
	v_mfma_f32_16x16x32_fp8_fp8 v[88:91], a[72:73], a[24:25], v[88:91]// 0000000037DC: D3F30058 1D623148
	v_mfma_f32_16x16x32_fp8_fp8 v[88:91], a[74:75], a[26:27], v[88:91]// 0000000037E4: D3F30058 1D62354A
	buffer_load_dwordx4 a[52:55], v42, s[24:27], 0 offen offset:1024// 0000000037EC: E05C1400 8086342A
	v_mfma_f32_16x16x32_fp8_fp8 v[88:91], a[76:77], a[28:29], v[88:91]// 0000000037F4: D3F30058 1D62394C
	v_mfma_f32_16x16x32_fp8_fp8 v[88:91], a[78:79], a[30:31], v[88:91]// 0000000037FC: D3F30058 1D623D4E
	v_mfma_f32_16x16x32_fp8_fp8 v[96:99], a[80:81], a[24:25], v[96:99]// 000000003804: D3F30060 1D823150
	v_mfma_f32_16x16x32_fp8_fp8 v[96:99], a[82:83], a[26:27], v[96:99]// 00000000380C: D3F30060 1D823552
	buffer_load_dwordx4 a[56:59], v43, s[24:27], 0 offen       // 000000003814: E05C1000 8086382B
	v_mfma_f32_16x16x32_fp8_fp8 v[96:99], a[84:85], a[28:29], v[96:99]// 00000000381C: D3F30060 1D823954
	s_add_u32 s60, 0x180, s80                                  // 000000003824: 803C50FF 00000180
	s_cmp_lt_u32 s60, s81                                      // 00000000382C: BF0A513C
	s_cselect_b32 s57, s57, 0                                  // 000000003830: 85398039
	v_mfma_f32_16x16x32_fp8_fp8 v[96:99], a[86:87], a[30:31], v[96:99]// 000000003834: D3F30060 1D823D56
	s_add_u32 s60, 0x100, s80                                  // 00000000383C: 803C50FF 00000100
	s_cmp_lt_u32 s60, s81                                      // 000000003844: BF0A513C
	s_cselect_b32 s58, s58, 0                                  // 000000003848: 853A803A
	v_mfma_f32_16x16x32_fp8_fp8 v[104:107], a[88:89], a[24:25], v[104:107]// 00000000384C: D3F30068 1DA23158
	v_mfma_f32_16x16x32_fp8_fp8 v[104:107], a[90:91], a[26:27], v[104:107]// 000000003854: D3F30068 1DA2355A
	buffer_load_dwordx4 a[60:63], v43, s[24:27], 0 offen offset:1024// 00000000385C: E05C1400 80863C2B
	s_add_u32 s20, s57, s20                                    // 000000003864: 80141439
	s_addc_u32 s21, 0, s21                                     // 000000003868: 82151580
	v_mfma_f32_16x16x32_fp8_fp8 v[104:107], a[92:93], a[28:29], v[104:107]// 00000000386C: D3F30068 1DA2395C
	s_add_u32 s84, s83, s84                                    // 000000003874: 80545453
	s_addc_u32 s85, 0, s85                                     // 000000003878: 82555580
	v_mfma_f32_16x16x32_fp8_fp8 v[104:107], a[94:95], a[30:31], v[104:107]// 00000000387C: D3F30068 1DA23D5E
	s_add_u32 s24, s58, s24                                    // 000000003884: 8018183A
	s_addc_u32 s25, 0, s25                                     // 000000003888: 82191980
	s_addk_i32 s80, 0x80                                       // 00000000388C: B7500080
	s_cmp_lt_i32 s80, s81                                      // 000000003890: BF045150
	s_cbranch_scc0 label_03A7                                  // 000000003894: BF840001
	s_branch label_0202                                        // 000000003898: BF82FE5B

000000000000389c <label_03A7>:
	v_mul_f32_dpp v44, v24, v44 row_newbcast:0 row_mask:0xf bank_mask:0xf// 00000000389C: 0A5858FA FF015018
	v_mul_f32_dpp v45, v24, v45 row_newbcast:1 row_mask:0xf bank_mask:0xf// 0000000038A4: 0A5A5AFA FF015118
	v_mul_f32_dpp v46, v24, v46 row_newbcast:2 row_mask:0xf bank_mask:0xf// 0000000038AC: 0A5C5CFA FF015218
	v_mul_f32_dpp v47, v24, v47 row_newbcast:3 row_mask:0xf bank_mask:0xf// 0000000038B4: 0A5E5EFA FF015318
	v_mul_f32_dpp v48, v24, v48 row_newbcast:0 row_mask:0xf bank_mask:0xf// 0000000038BC: 0A6060FA FF015018
	v_mul_f32_dpp v49, v24, v49 row_newbcast:1 row_mask:0xf bank_mask:0xf// 0000000038C4: 0A6262FA FF015118
	v_mul_f32_dpp v50, v24, v50 row_newbcast:2 row_mask:0xf bank_mask:0xf// 0000000038CC: 0A6464FA FF015218
	v_mul_f32_dpp v51, v24, v51 row_newbcast:3 row_mask:0xf bank_mask:0xf// 0000000038D4: 0A6666FA FF015318
	v_mul_f32_dpp v52, v24, v52 row_newbcast:4 row_mask:0xf bank_mask:0xf// 0000000038DC: 0A6868FA FF015418
	v_mul_f32_dpp v53, v24, v53 row_newbcast:5 row_mask:0xf bank_mask:0xf// 0000000038E4: 0A6A6AFA FF015518
	v_mul_f32_dpp v54, v24, v54 row_newbcast:6 row_mask:0xf bank_mask:0xf// 0000000038EC: 0A6C6CFA FF015618
	v_mul_f32_dpp v55, v24, v55 row_newbcast:7 row_mask:0xf bank_mask:0xf// 0000000038F4: 0A6E6EFA FF015718
	v_mul_f32_dpp v56, v24, v56 row_newbcast:4 row_mask:0xf bank_mask:0xf// 0000000038FC: 0A7070FA FF015418
	v_mul_f32_dpp v57, v24, v57 row_newbcast:5 row_mask:0xf bank_mask:0xf// 000000003904: 0A7272FA FF015518
	v_mul_f32_dpp v58, v24, v58 row_newbcast:6 row_mask:0xf bank_mask:0xf// 00000000390C: 0A7474FA FF015618
	v_mul_f32_dpp v59, v24, v59 row_newbcast:7 row_mask:0xf bank_mask:0xf// 000000003914: 0A7676FA FF015718
	v_mul_f32_dpp v60, v24, v60 row_newbcast:8 row_mask:0xf bank_mask:0xf// 00000000391C: 0A7878FA FF015818
	v_mul_f32_dpp v61, v24, v61 row_newbcast:9 row_mask:0xf bank_mask:0xf// 000000003924: 0A7A7AFA FF015918
	v_mul_f32_dpp v62, v24, v62 row_newbcast:10 row_mask:0xf bank_mask:0xf// 00000000392C: 0A7C7CFA FF015A18
	v_mul_f32_dpp v63, v24, v63 row_newbcast:11 row_mask:0xf bank_mask:0xf// 000000003934: 0A7E7EFA FF015B18
	v_mul_f32_dpp v64, v24, v64 row_newbcast:8 row_mask:0xf bank_mask:0xf// 00000000393C: 0A8080FA FF015818
	v_mul_f32_dpp v65, v24, v65 row_newbcast:9 row_mask:0xf bank_mask:0xf// 000000003944: 0A8282FA FF015918
	v_mul_f32_dpp v66, v24, v66 row_newbcast:10 row_mask:0xf bank_mask:0xf// 00000000394C: 0A8484FA FF015A18
	v_mul_f32_dpp v67, v24, v67 row_newbcast:11 row_mask:0xf bank_mask:0xf// 000000003954: 0A8686FA FF015B18
	v_mul_f32_dpp v68, v24, v68 row_newbcast:12 row_mask:0xf bank_mask:0xf// 00000000395C: 0A8888FA FF015C18
	v_mul_f32_dpp v69, v24, v69 row_newbcast:13 row_mask:0xf bank_mask:0xf// 000000003964: 0A8A8AFA FF015D18
	v_mul_f32_dpp v70, v24, v70 row_newbcast:14 row_mask:0xf bank_mask:0xf// 00000000396C: 0A8C8CFA FF015E18
	v_mul_f32_dpp v71, v24, v71 row_newbcast:15 row_mask:0xf bank_mask:0xf// 000000003974: 0A8E8EFA FF015F18
	v_mul_f32_dpp v72, v24, v72 row_newbcast:12 row_mask:0xf bank_mask:0xf// 00000000397C: 0A9090FA FF015C18
	v_mul_f32_dpp v73, v24, v73 row_newbcast:13 row_mask:0xf bank_mask:0xf// 000000003984: 0A9292FA FF015D18
	v_mul_f32_dpp v74, v24, v74 row_newbcast:14 row_mask:0xf bank_mask:0xf// 00000000398C: 0A9494FA FF015E18
	v_mul_f32_dpp v75, v24, v75 row_newbcast:15 row_mask:0xf bank_mask:0xf// 000000003994: 0A9696FA FF015F18
	v_mul_f32_dpp v76, v26, v76 row_newbcast:0 row_mask:0xf bank_mask:0xf// 00000000399C: 0A9898FA FF01501A
	v_mul_f32_dpp v77, v26, v77 row_newbcast:1 row_mask:0xf bank_mask:0xf// 0000000039A4: 0A9A9AFA FF01511A
	v_mul_f32_dpp v78, v26, v78 row_newbcast:2 row_mask:0xf bank_mask:0xf// 0000000039AC: 0A9C9CFA FF01521A
	v_mul_f32_dpp v79, v26, v79 row_newbcast:3 row_mask:0xf bank_mask:0xf// 0000000039B4: 0A9E9EFA FF01531A
	v_mul_f32_dpp v80, v26, v80 row_newbcast:0 row_mask:0xf bank_mask:0xf// 0000000039BC: 0AA0A0FA FF01501A
	v_mul_f32_dpp v81, v26, v81 row_newbcast:1 row_mask:0xf bank_mask:0xf// 0000000039C4: 0AA2A2FA FF01511A
	v_mul_f32_dpp v82, v26, v82 row_newbcast:2 row_mask:0xf bank_mask:0xf// 0000000039CC: 0AA4A4FA FF01521A
	v_mul_f32_dpp v83, v26, v83 row_newbcast:3 row_mask:0xf bank_mask:0xf// 0000000039D4: 0AA6A6FA FF01531A
	v_mul_f32_dpp v84, v26, v84 row_newbcast:4 row_mask:0xf bank_mask:0xf// 0000000039DC: 0AA8A8FA FF01541A
	v_mul_f32_dpp v85, v26, v85 row_newbcast:5 row_mask:0xf bank_mask:0xf// 0000000039E4: 0AAAAAFA FF01551A
	v_mul_f32_dpp v86, v26, v86 row_newbcast:6 row_mask:0xf bank_mask:0xf// 0000000039EC: 0AACACFA FF01561A
	v_mul_f32_dpp v87, v26, v87 row_newbcast:7 row_mask:0xf bank_mask:0xf// 0000000039F4: 0AAEAEFA FF01571A
	v_mul_f32_dpp v88, v26, v88 row_newbcast:4 row_mask:0xf bank_mask:0xf// 0000000039FC: 0AB0B0FA FF01541A
	v_mul_f32_dpp v89, v26, v89 row_newbcast:5 row_mask:0xf bank_mask:0xf// 000000003A04: 0AB2B2FA FF01551A
	v_mul_f32_dpp v90, v26, v90 row_newbcast:6 row_mask:0xf bank_mask:0xf// 000000003A0C: 0AB4B4FA FF01561A
	v_mul_f32_dpp v91, v26, v91 row_newbcast:7 row_mask:0xf bank_mask:0xf// 000000003A14: 0AB6B6FA FF01571A
	v_mul_f32_dpp v92, v26, v92 row_newbcast:8 row_mask:0xf bank_mask:0xf// 000000003A1C: 0AB8B8FA FF01581A
	v_mul_f32_dpp v93, v26, v93 row_newbcast:9 row_mask:0xf bank_mask:0xf// 000000003A24: 0ABABAFA FF01591A
	v_mul_f32_dpp v94, v26, v94 row_newbcast:10 row_mask:0xf bank_mask:0xf// 000000003A2C: 0ABCBCFA FF015A1A
	v_mul_f32_dpp v95, v26, v95 row_newbcast:11 row_mask:0xf bank_mask:0xf// 000000003A34: 0ABEBEFA FF015B1A
	v_mul_f32_dpp v96, v26, v96 row_newbcast:8 row_mask:0xf bank_mask:0xf// 000000003A3C: 0AC0C0FA FF01581A
	v_mul_f32_dpp v97, v26, v97 row_newbcast:9 row_mask:0xf bank_mask:0xf// 000000003A44: 0AC2C2FA FF01591A
	v_mul_f32_dpp v98, v26, v98 row_newbcast:10 row_mask:0xf bank_mask:0xf// 000000003A4C: 0AC4C4FA FF015A1A
	v_mul_f32_dpp v99, v26, v99 row_newbcast:11 row_mask:0xf bank_mask:0xf// 000000003A54: 0AC6C6FA FF015B1A
	v_mul_f32_dpp v100, v26, v100 row_newbcast:12 row_mask:0xf bank_mask:0xf// 000000003A5C: 0AC8C8FA FF015C1A
	v_mul_f32_dpp v101, v26, v101 row_newbcast:13 row_mask:0xf bank_mask:0xf// 000000003A64: 0ACACAFA FF015D1A
	v_mul_f32_dpp v102, v26, v102 row_newbcast:14 row_mask:0xf bank_mask:0xf// 000000003A6C: 0ACCCCFA FF015E1A
	v_mul_f32_dpp v103, v26, v103 row_newbcast:15 row_mask:0xf bank_mask:0xf// 000000003A74: 0ACECEFA FF015F1A
	v_mul_f32_dpp v104, v26, v104 row_newbcast:12 row_mask:0xf bank_mask:0xf// 000000003A7C: 0AD0D0FA FF015C1A
	v_mul_f32_dpp v105, v26, v105 row_newbcast:13 row_mask:0xf bank_mask:0xf// 000000003A84: 0AD2D2FA FF015D1A
	v_mul_f32_dpp v106, v26, v106 row_newbcast:14 row_mask:0xf bank_mask:0xf// 000000003A8C: 0AD4D4FA FF015E1A
	v_mul_f32_dpp v107, v26, v107 row_newbcast:15 row_mask:0xf bank_mask:0xf// 000000003A94: 0AD6D6FA FF015F1A
	v_mul_f32_e32 v30, v30, v108                               // 000000003A9C: 0A3CD91E
	v_mov_b32_e32 v4, v30                                      // 000000003AA0: 7E08031E
	v_mov_b32_e32 v5, v4                                       // 000000003AA4: 7E0A0304
	v_pk_mul_f32 v[44:45], v[4:5], v[44:45]                    // 000000003AA8: D3B1402C 18025904
	v_pk_mul_f32 v[76:77], v[4:5], v[76:77]                    // 000000003AB0: D3B1404C 18029904
	v_pk_mul_f32 v[46:47], v[4:5], v[46:47]                    // 000000003AB8: D3B1402E 18025D04
	v_pk_mul_f32 v[78:79], v[4:5], v[78:79]                    // 000000003AC0: D3B1404E 18029D04
	v_pk_mul_f32 v[52:53], v[4:5], v[52:53]                    // 000000003AC8: D3B14034 18026904
	v_pk_mul_f32 v[84:85], v[4:5], v[84:85]                    // 000000003AD0: D3B14054 1802A904
	v_pk_mul_f32 v[54:55], v[4:5], v[54:55]                    // 000000003AD8: D3B14036 18026D04
	v_pk_mul_f32 v[86:87], v[4:5], v[86:87]                    // 000000003AE0: D3B14056 1802AD04
	v_pk_mul_f32 v[60:61], v[4:5], v[60:61]                    // 000000003AE8: D3B1403C 18027904
	v_pk_mul_f32 v[92:93], v[4:5], v[92:93]                    // 000000003AF0: D3B1405C 1802B904
	v_pk_mul_f32 v[62:63], v[4:5], v[62:63]                    // 000000003AF8: D3B1403E 18027D04
	v_pk_mul_f32 v[94:95], v[4:5], v[94:95]                    // 000000003B00: D3B1405E 1802BD04
	v_pk_mul_f32 v[68:69], v[4:5], v[68:69]                    // 000000003B08: D3B14044 18028904
	v_pk_mul_f32 v[100:101], v[4:5], v[100:101]                // 000000003B10: D3B14064 1802C904
	v_pk_mul_f32 v[70:71], v[4:5], v[70:71]                    // 000000003B18: D3B14046 18028D04
	v_pk_mul_f32 v[102:103], v[4:5], v[102:103]                // 000000003B20: D3B14066 1802CD04
	v_mul_f32_e32 v31, v31, v109                               // 000000003B28: 0A3EDB1F
	v_mov_b32_e32 v4, v31                                      // 000000003B2C: 7E08031F
	v_mov_b32_e32 v5, v4                                       // 000000003B30: 7E0A0304
	v_pk_mul_f32 v[48:49], v[4:5], v[48:49]                    // 000000003B34: D3B14030 18026104
	v_pk_mul_f32 v[80:81], v[4:5], v[80:81]                    // 000000003B3C: D3B14050 1802A104
	v_pk_mul_f32 v[50:51], v[4:5], v[50:51]                    // 000000003B44: D3B14032 18026504
	v_pk_mul_f32 v[82:83], v[4:5], v[82:83]                    // 000000003B4C: D3B14052 1802A504
	v_pk_mul_f32 v[56:57], v[4:5], v[56:57]                    // 000000003B54: D3B14038 18027104
	v_pk_mul_f32 v[88:89], v[4:5], v[88:89]                    // 000000003B5C: D3B14058 1802B104
	v_pk_mul_f32 v[58:59], v[4:5], v[58:59]                    // 000000003B64: D3B1403A 18027504
	v_pk_mul_f32 v[90:91], v[4:5], v[90:91]                    // 000000003B6C: D3B1405A 1802B504
	v_pk_mul_f32 v[64:65], v[4:5], v[64:65]                    // 000000003B74: D3B14040 18028104
	v_pk_mul_f32 v[96:97], v[4:5], v[96:97]                    // 000000003B7C: D3B14060 1802C104
	v_pk_mul_f32 v[66:67], v[4:5], v[66:67]                    // 000000003B84: D3B14042 18028504
	v_pk_mul_f32 v[98:99], v[4:5], v[98:99]                    // 000000003B8C: D3B14062 1802C504
	v_pk_mul_f32 v[72:73], v[4:5], v[72:73]                    // 000000003B94: D3B14048 18029104
	v_pk_mul_f32 v[104:105], v[4:5], v[104:105]                // 000000003B9C: D3B14068 1802D104
	v_pk_mul_f32 v[74:75], v[4:5], v[74:75]                    // 000000003BA4: D3B1404A 18029504
	v_pk_mul_f32 v[106:107], v[4:5], v[106:107]                // 000000003BAC: D3B1406A 1802D504
	s_cmp_eq_u32 s88, 0                                        // 000000003BB4: BF068058
	s_cbranch_scc0 label_0898                                  // 000000003BB8: BF840429
	s_cmp_eq_u32 s89, 0                                        // 000000003BBC: BF068059
	s_cbranch_scc1 label_05B6                                  // 000000003BC0: BF850145
	v_mov_b32_e32 v8, v1                                       // 000000003BC4: 7E100301
	v_mov_b32_e32 v9, v1                                       // 000000003BC8: 7E120301
	s_mov_b32 s60, s6                                          // 000000003BCC: BEBC0006
	s_mov_b32 s61, s6                                          // 000000003BD0: BEBD0006
	v_pk_mul_f32 v[4:5], v[44:45], v[44:45]                    // 000000003BD4: D3B14004 1802592C
	v_pk_mul_f32 v[6:7], v[46:47], v[46:47]                    // 000000003BDC: D3B14006 18025D2E
	v_pk_fma_f32 v[4:5], v[4:5], s[78:79], v[8:9]              // 000000003BE4: D3B04004 1C209D04
	v_pk_fma_f32 v[6:7], v[6:7], s[78:79], v[8:9]              // 000000003BEC: D3B04006 1C209D06
	v_pk_mul_f32 v[4:5], v[4:5], v[44:45]                      // 000000003BF4: D3B14004 18025904
	v_pk_mul_f32 v[6:7], v[6:7], v[46:47]                      // 000000003BFC: D3B14006 18025D06
	v_pk_mul_f32 v[4:5], v[4:5], s[60:61]                      // 000000003C04: D3B14004 18007904
	v_pk_mul_f32 v[6:7], v[6:7], s[60:61]                      // 000000003C0C: D3B14006 18007906
	v_exp_f32_e32 v4, v4                                       // 000000003C14: 7E084104
	v_exp_f32_e32 v5, v5                                       // 000000003C18: 7E0A4105
	v_exp_f32_e32 v6, v6                                       // 000000003C1C: 7E0C4106
	v_exp_f32_e32 v7, v7                                       // 000000003C20: 7E0E4107
	v_add_f32_e64 v4, v4, 1.0                                  // 000000003C24: D1010004 0001E504
	v_add_f32_e64 v5, v5, 1.0                                  // 000000003C2C: D1010005 0001E505
	v_add_f32_e64 v6, v6, 1.0                                  // 000000003C34: D1010006 0001E506
	v_add_f32_e64 v7, v7, 1.0                                  // 000000003C3C: D1010007 0001E507
	v_rcp_f32_e32 v4, v4                                       // 000000003C44: 7E084504
	v_rcp_f32_e32 v5, v5                                       // 000000003C48: 7E0A4505
	v_rcp_f32_e32 v6, v6                                       // 000000003C4C: 7E0C4506
	v_rcp_f32_e32 v7, v7                                       // 000000003C50: 7E0E4507
	v_mul_f32_e32 v44, v44, v4                                 // 000000003C54: 0A58092C
	v_mul_f32_e32 v45, v45, v5                                 // 000000003C58: 0A5A0B2D
	v_mul_f32_e32 v46, v46, v6                                 // 000000003C5C: 0A5C0D2E
	v_mul_f32_e32 v47, v47, v7                                 // 000000003C60: 0A5E0F2F
	v_mul_f32_e32 v44, v44, v76                                // 000000003C64: 0A58992C
	v_mul_f32_e32 v45, v45, v77                                // 000000003C68: 0A5A9B2D
	v_mul_f32_e32 v46, v46, v78                                // 000000003C6C: 0A5C9D2E
	v_mul_f32_e32 v47, v47, v79                                // 000000003C70: 0A5E9F2F
	v_pk_mul_f32 v[4:5], v[48:49], v[48:49]                    // 000000003C74: D3B14004 18026130
	v_pk_mul_f32 v[6:7], v[50:51], v[50:51]                    // 000000003C7C: D3B14006 18026532
	v_pk_fma_f32 v[4:5], v[4:5], s[78:79], v[8:9]              // 000000003C84: D3B04004 1C209D04
	v_pk_fma_f32 v[6:7], v[6:7], s[78:79], v[8:9]              // 000000003C8C: D3B04006 1C209D06
	v_pk_mul_f32 v[4:5], v[4:5], v[48:49]                      // 000000003C94: D3B14004 18026104
	v_pk_mul_f32 v[6:7], v[6:7], v[50:51]                      // 000000003C9C: D3B14006 18026506
	v_pk_mul_f32 v[4:5], v[4:5], s[60:61]                      // 000000003CA4: D3B14004 18007904
	v_pk_mul_f32 v[6:7], v[6:7], s[60:61]                      // 000000003CAC: D3B14006 18007906
	v_exp_f32_e32 v4, v4                                       // 000000003CB4: 7E084104
	v_exp_f32_e32 v5, v5                                       // 000000003CB8: 7E0A4105
	v_exp_f32_e32 v6, v6                                       // 000000003CBC: 7E0C4106
	v_exp_f32_e32 v7, v7                                       // 000000003CC0: 7E0E4107
	v_add_f32_e64 v4, v4, 1.0                                  // 000000003CC4: D1010004 0001E504
	v_add_f32_e64 v5, v5, 1.0                                  // 000000003CCC: D1010005 0001E505
	v_add_f32_e64 v6, v6, 1.0                                  // 000000003CD4: D1010006 0001E506
	v_add_f32_e64 v7, v7, 1.0                                  // 000000003CDC: D1010007 0001E507
	v_rcp_f32_e32 v4, v4                                       // 000000003CE4: 7E084504
	v_rcp_f32_e32 v5, v5                                       // 000000003CE8: 7E0A4505
	v_rcp_f32_e32 v6, v6                                       // 000000003CEC: 7E0C4506
	v_rcp_f32_e32 v7, v7                                       // 000000003CF0: 7E0E4507
	v_mul_f32_e32 v48, v48, v4                                 // 000000003CF4: 0A600930
	v_mul_f32_e32 v49, v49, v5                                 // 000000003CF8: 0A620B31
	v_mul_f32_e32 v50, v50, v6                                 // 000000003CFC: 0A640D32
	v_mul_f32_e32 v51, v51, v7                                 // 000000003D00: 0A660F33
	v_mul_f32_e32 v48, v48, v80                                // 000000003D04: 0A60A130
	v_mul_f32_e32 v49, v49, v81                                // 000000003D08: 0A62A331
	v_mul_f32_e32 v50, v50, v82                                // 000000003D0C: 0A64A532
	v_mul_f32_e32 v51, v51, v83                                // 000000003D10: 0A66A733
	v_pk_mul_f32 v[4:5], v[52:53], v[52:53]                    // 000000003D14: D3B14004 18026934
	v_pk_mul_f32 v[6:7], v[54:55], v[54:55]                    // 000000003D1C: D3B14006 18026D36
	v_pk_fma_f32 v[4:5], v[4:5], s[78:79], v[8:9]              // 000000003D24: D3B04004 1C209D04
	v_pk_fma_f32 v[6:7], v[6:7], s[78:79], v[8:9]              // 000000003D2C: D3B04006 1C209D06
	v_pk_mul_f32 v[4:5], v[4:5], v[52:53]                      // 000000003D34: D3B14004 18026904
	v_pk_mul_f32 v[6:7], v[6:7], v[54:55]                      // 000000003D3C: D3B14006 18026D06
	v_pk_mul_f32 v[4:5], v[4:5], s[60:61]                      // 000000003D44: D3B14004 18007904
	v_pk_mul_f32 v[6:7], v[6:7], s[60:61]                      // 000000003D4C: D3B14006 18007906
	v_exp_f32_e32 v4, v4                                       // 000000003D54: 7E084104
	v_exp_f32_e32 v5, v5                                       // 000000003D58: 7E0A4105
	v_exp_f32_e32 v6, v6                                       // 000000003D5C: 7E0C4106
	v_exp_f32_e32 v7, v7                                       // 000000003D60: 7E0E4107
	v_add_f32_e64 v4, v4, 1.0                                  // 000000003D64: D1010004 0001E504
	v_add_f32_e64 v5, v5, 1.0                                  // 000000003D6C: D1010005 0001E505
	v_add_f32_e64 v6, v6, 1.0                                  // 000000003D74: D1010006 0001E506
	v_add_f32_e64 v7, v7, 1.0                                  // 000000003D7C: D1010007 0001E507
	v_rcp_f32_e32 v4, v4                                       // 000000003D84: 7E084504
	v_rcp_f32_e32 v5, v5                                       // 000000003D88: 7E0A4505
	v_rcp_f32_e32 v6, v6                                       // 000000003D8C: 7E0C4506
	v_rcp_f32_e32 v7, v7                                       // 000000003D90: 7E0E4507
	v_mul_f32_e32 v52, v52, v4                                 // 000000003D94: 0A680934
	v_mul_f32_e32 v53, v53, v5                                 // 000000003D98: 0A6A0B35
	v_mul_f32_e32 v54, v54, v6                                 // 000000003D9C: 0A6C0D36
	v_mul_f32_e32 v55, v55, v7                                 // 000000003DA0: 0A6E0F37
	v_mul_f32_e32 v52, v52, v84                                // 000000003DA4: 0A68A934
	v_mul_f32_e32 v53, v53, v85                                // 000000003DA8: 0A6AAB35
	v_mul_f32_e32 v54, v54, v86                                // 000000003DAC: 0A6CAD36
	v_mul_f32_e32 v55, v55, v87                                // 000000003DB0: 0A6EAF37
	v_pk_mul_f32 v[4:5], v[56:57], v[56:57]                    // 000000003DB4: D3B14004 18027138
	v_pk_mul_f32 v[6:7], v[58:59], v[58:59]                    // 000000003DBC: D3B14006 1802753A
	v_pk_fma_f32 v[4:5], v[4:5], s[78:79], v[8:9]              // 000000003DC4: D3B04004 1C209D04
	v_pk_fma_f32 v[6:7], v[6:7], s[78:79], v[8:9]              // 000000003DCC: D3B04006 1C209D06
	v_pk_mul_f32 v[4:5], v[4:5], v[56:57]                      // 000000003DD4: D3B14004 18027104
	v_pk_mul_f32 v[6:7], v[6:7], v[58:59]                      // 000000003DDC: D3B14006 18027506
	v_pk_mul_f32 v[4:5], v[4:5], s[60:61]                      // 000000003DE4: D3B14004 18007904
	v_pk_mul_f32 v[6:7], v[6:7], s[60:61]                      // 000000003DEC: D3B14006 18007906
	v_exp_f32_e32 v4, v4                                       // 000000003DF4: 7E084104
	v_exp_f32_e32 v5, v5                                       // 000000003DF8: 7E0A4105
	v_exp_f32_e32 v6, v6                                       // 000000003DFC: 7E0C4106
	v_exp_f32_e32 v7, v7                                       // 000000003E00: 7E0E4107
	v_add_f32_e64 v4, v4, 1.0                                  // 000000003E04: D1010004 0001E504
	v_add_f32_e64 v5, v5, 1.0                                  // 000000003E0C: D1010005 0001E505
	v_add_f32_e64 v6, v6, 1.0                                  // 000000003E14: D1010006 0001E506
	v_add_f32_e64 v7, v7, 1.0                                  // 000000003E1C: D1010007 0001E507
	v_rcp_f32_e32 v4, v4                                       // 000000003E24: 7E084504
	v_rcp_f32_e32 v5, v5                                       // 000000003E28: 7E0A4505
	v_rcp_f32_e32 v6, v6                                       // 000000003E2C: 7E0C4506
	v_rcp_f32_e32 v7, v7                                       // 000000003E30: 7E0E4507
	v_mul_f32_e32 v56, v56, v4                                 // 000000003E34: 0A700938
	v_mul_f32_e32 v57, v57, v5                                 // 000000003E38: 0A720B39
	v_mul_f32_e32 v58, v58, v6                                 // 000000003E3C: 0A740D3A
	v_mul_f32_e32 v59, v59, v7                                 // 000000003E40: 0A760F3B
	v_mul_f32_e32 v56, v56, v88                                // 000000003E44: 0A70B138
	v_mul_f32_e32 v57, v57, v89                                // 000000003E48: 0A72B339
	v_mul_f32_e32 v58, v58, v90                                // 000000003E4C: 0A74B53A
	v_mul_f32_e32 v59, v59, v91                                // 000000003E50: 0A76B73B
	v_pk_mul_f32 v[4:5], v[60:61], v[60:61]                    // 000000003E54: D3B14004 1802793C
	v_pk_mul_f32 v[6:7], v[62:63], v[62:63]                    // 000000003E5C: D3B14006 18027D3E
	v_pk_fma_f32 v[4:5], v[4:5], s[78:79], v[8:9]              // 000000003E64: D3B04004 1C209D04
	v_pk_fma_f32 v[6:7], v[6:7], s[78:79], v[8:9]              // 000000003E6C: D3B04006 1C209D06
	v_pk_mul_f32 v[4:5], v[4:5], v[60:61]                      // 000000003E74: D3B14004 18027904
	v_pk_mul_f32 v[6:7], v[6:7], v[62:63]                      // 000000003E7C: D3B14006 18027D06
	v_pk_mul_f32 v[4:5], v[4:5], s[60:61]                      // 000000003E84: D3B14004 18007904
	v_pk_mul_f32 v[6:7], v[6:7], s[60:61]                      // 000000003E8C: D3B14006 18007906
	v_exp_f32_e32 v4, v4                                       // 000000003E94: 7E084104
	v_exp_f32_e32 v5, v5                                       // 000000003E98: 7E0A4105
	v_exp_f32_e32 v6, v6                                       // 000000003E9C: 7E0C4106
	v_exp_f32_e32 v7, v7                                       // 000000003EA0: 7E0E4107
	v_add_f32_e64 v4, v4, 1.0                                  // 000000003EA4: D1010004 0001E504
	v_add_f32_e64 v5, v5, 1.0                                  // 000000003EAC: D1010005 0001E505
	v_add_f32_e64 v6, v6, 1.0                                  // 000000003EB4: D1010006 0001E506
	v_add_f32_e64 v7, v7, 1.0                                  // 000000003EBC: D1010007 0001E507
	v_rcp_f32_e32 v4, v4                                       // 000000003EC4: 7E084504
	v_rcp_f32_e32 v5, v5                                       // 000000003EC8: 7E0A4505
	v_rcp_f32_e32 v6, v6                                       // 000000003ECC: 7E0C4506
	v_rcp_f32_e32 v7, v7                                       // 000000003ED0: 7E0E4507
	v_mul_f32_e32 v60, v60, v4                                 // 000000003ED4: 0A78093C
	v_mul_f32_e32 v61, v61, v5                                 // 000000003ED8: 0A7A0B3D
	v_mul_f32_e32 v62, v62, v6                                 // 000000003EDC: 0A7C0D3E
	v_mul_f32_e32 v63, v63, v7                                 // 000000003EE0: 0A7E0F3F
	v_mul_f32_e32 v60, v60, v92                                // 000000003EE4: 0A78B93C
	v_mul_f32_e32 v61, v61, v93                                // 000000003EE8: 0A7ABB3D
	v_mul_f32_e32 v62, v62, v94                                // 000000003EEC: 0A7CBD3E
	v_mul_f32_e32 v63, v63, v95                                // 000000003EF0: 0A7EBF3F
	v_pk_mul_f32 v[4:5], v[64:65], v[64:65]                    // 000000003EF4: D3B14004 18028140
	v_pk_mul_f32 v[6:7], v[66:67], v[66:67]                    // 000000003EFC: D3B14006 18028542
	v_pk_fma_f32 v[4:5], v[4:5], s[78:79], v[8:9]              // 000000003F04: D3B04004 1C209D04
	v_pk_fma_f32 v[6:7], v[6:7], s[78:79], v[8:9]              // 000000003F0C: D3B04006 1C209D06
	v_pk_mul_f32 v[4:5], v[4:5], v[64:65]                      // 000000003F14: D3B14004 18028104
	v_pk_mul_f32 v[6:7], v[6:7], v[66:67]                      // 000000003F1C: D3B14006 18028506
	v_pk_mul_f32 v[4:5], v[4:5], s[60:61]                      // 000000003F24: D3B14004 18007904
	v_pk_mul_f32 v[6:7], v[6:7], s[60:61]                      // 000000003F2C: D3B14006 18007906
	v_exp_f32_e32 v4, v4                                       // 000000003F34: 7E084104
	v_exp_f32_e32 v5, v5                                       // 000000003F38: 7E0A4105
	v_exp_f32_e32 v6, v6                                       // 000000003F3C: 7E0C4106
	v_exp_f32_e32 v7, v7                                       // 000000003F40: 7E0E4107
	v_add_f32_e64 v4, v4, 1.0                                  // 000000003F44: D1010004 0001E504
	v_add_f32_e64 v5, v5, 1.0                                  // 000000003F4C: D1010005 0001E505
	v_add_f32_e64 v6, v6, 1.0                                  // 000000003F54: D1010006 0001E506
	v_add_f32_e64 v7, v7, 1.0                                  // 000000003F5C: D1010007 0001E507
	v_rcp_f32_e32 v4, v4                                       // 000000003F64: 7E084504
	v_rcp_f32_e32 v5, v5                                       // 000000003F68: 7E0A4505
	v_rcp_f32_e32 v6, v6                                       // 000000003F6C: 7E0C4506
	v_rcp_f32_e32 v7, v7                                       // 000000003F70: 7E0E4507
	v_mul_f32_e32 v64, v64, v4                                 // 000000003F74: 0A800940
	v_mul_f32_e32 v65, v65, v5                                 // 000000003F78: 0A820B41
	v_mul_f32_e32 v66, v66, v6                                 // 000000003F7C: 0A840D42
	v_mul_f32_e32 v67, v67, v7                                 // 000000003F80: 0A860F43
	v_mul_f32_e32 v64, v64, v96                                // 000000003F84: 0A80C140
	v_mul_f32_e32 v65, v65, v97                                // 000000003F88: 0A82C341
	v_mul_f32_e32 v66, v66, v98                                // 000000003F8C: 0A84C542
	v_mul_f32_e32 v67, v67, v99                                // 000000003F90: 0A86C743
	v_pk_mul_f32 v[4:5], v[68:69], v[68:69]                    // 000000003F94: D3B14004 18028944
	v_pk_mul_f32 v[6:7], v[70:71], v[70:71]                    // 000000003F9C: D3B14006 18028D46
	v_pk_fma_f32 v[4:5], v[4:5], s[78:79], v[8:9]              // 000000003FA4: D3B04004 1C209D04
	v_pk_fma_f32 v[6:7], v[6:7], s[78:79], v[8:9]              // 000000003FAC: D3B04006 1C209D06
	v_pk_mul_f32 v[4:5], v[4:5], v[68:69]                      // 000000003FB4: D3B14004 18028904
	v_pk_mul_f32 v[6:7], v[6:7], v[70:71]                      // 000000003FBC: D3B14006 18028D06
	v_pk_mul_f32 v[4:5], v[4:5], s[60:61]                      // 000000003FC4: D3B14004 18007904
	v_pk_mul_f32 v[6:7], v[6:7], s[60:61]                      // 000000003FCC: D3B14006 18007906
	v_exp_f32_e32 v4, v4                                       // 000000003FD4: 7E084104
	v_exp_f32_e32 v5, v5                                       // 000000003FD8: 7E0A4105
	v_exp_f32_e32 v6, v6                                       // 000000003FDC: 7E0C4106
	v_exp_f32_e32 v7, v7                                       // 000000003FE0: 7E0E4107
	v_add_f32_e64 v4, v4, 1.0                                  // 000000003FE4: D1010004 0001E504
	v_add_f32_e64 v5, v5, 1.0                                  // 000000003FEC: D1010005 0001E505
	v_add_f32_e64 v6, v6, 1.0                                  // 000000003FF4: D1010006 0001E506
	v_add_f32_e64 v7, v7, 1.0                                  // 000000003FFC: D1010007 0001E507
	v_rcp_f32_e32 v4, v4                                       // 000000004004: 7E084504
	v_rcp_f32_e32 v5, v5                                       // 000000004008: 7E0A4505
	v_rcp_f32_e32 v6, v6                                       // 00000000400C: 7E0C4506
	v_rcp_f32_e32 v7, v7                                       // 000000004010: 7E0E4507
	v_mul_f32_e32 v68, v68, v4                                 // 000000004014: 0A880944
	v_mul_f32_e32 v69, v69, v5                                 // 000000004018: 0A8A0B45
	v_mul_f32_e32 v70, v70, v6                                 // 00000000401C: 0A8C0D46
	v_mul_f32_e32 v71, v71, v7                                 // 000000004020: 0A8E0F47
	v_mul_f32_e32 v68, v68, v100                               // 000000004024: 0A88C944
	v_mul_f32_e32 v69, v69, v101                               // 000000004028: 0A8ACB45
	v_mul_f32_e32 v70, v70, v102                               // 00000000402C: 0A8CCD46
	v_mul_f32_e32 v71, v71, v103                               // 000000004030: 0A8ECF47
	v_pk_mul_f32 v[4:5], v[72:73], v[72:73]                    // 000000004034: D3B14004 18029148
	v_pk_mul_f32 v[6:7], v[74:75], v[74:75]                    // 00000000403C: D3B14006 1802954A
	v_pk_fma_f32 v[4:5], v[4:5], s[78:79], v[8:9]              // 000000004044: D3B04004 1C209D04
	v_pk_fma_f32 v[6:7], v[6:7], s[78:79], v[8:9]              // 00000000404C: D3B04006 1C209D06
	v_pk_mul_f32 v[4:5], v[4:5], v[72:73]                      // 000000004054: D3B14004 18029104
	v_pk_mul_f32 v[6:7], v[6:7], v[74:75]                      // 00000000405C: D3B14006 18029506
	v_pk_mul_f32 v[4:5], v[4:5], s[60:61]                      // 000000004064: D3B14004 18007904
	v_pk_mul_f32 v[6:7], v[6:7], s[60:61]                      // 00000000406C: D3B14006 18007906
	v_exp_f32_e32 v4, v4                                       // 000000004074: 7E084104
	v_exp_f32_e32 v5, v5                                       // 000000004078: 7E0A4105
	v_exp_f32_e32 v6, v6                                       // 00000000407C: 7E0C4106
	v_exp_f32_e32 v7, v7                                       // 000000004080: 7E0E4107
	v_add_f32_e64 v4, v4, 1.0                                  // 000000004084: D1010004 0001E504
	v_add_f32_e64 v5, v5, 1.0                                  // 00000000408C: D1010005 0001E505
	v_add_f32_e64 v6, v6, 1.0                                  // 000000004094: D1010006 0001E506
	v_add_f32_e64 v7, v7, 1.0                                  // 00000000409C: D1010007 0001E507
	v_rcp_f32_e32 v4, v4                                       // 0000000040A4: 7E084504
	v_rcp_f32_e32 v5, v5                                       // 0000000040A8: 7E0A4505
	v_rcp_f32_e32 v6, v6                                       // 0000000040AC: 7E0C4506
	v_rcp_f32_e32 v7, v7                                       // 0000000040B0: 7E0E4507
	v_mul_f32_e32 v72, v72, v4                                 // 0000000040B4: 0A900948
	v_mul_f32_e32 v73, v73, v5                                 // 0000000040B8: 0A920B49
	v_mul_f32_e32 v74, v74, v6                                 // 0000000040BC: 0A940D4A
	v_mul_f32_e32 v75, v75, v7                                 // 0000000040C0: 0A960F4B
	v_mul_f32_e32 v72, v72, v104                               // 0000000040C4: 0A90D148
	v_mul_f32_e32 v73, v73, v105                               // 0000000040C8: 0A92D349
	v_mul_f32_e32 v74, v74, v106                               // 0000000040CC: 0A94D54A
	v_mul_f32_e32 v75, v75, v107                               // 0000000040D0: 0A96D74B
	s_branch label_06B6                                        // 0000000040D4: BF820100

00000000000040d8 <label_05B6>:
	v_mul_f32_e64 v4, -v44, s6                                 // 0000000040D8: D1050004 20000D2C
	v_mul_f32_e64 v5, -v45, s6                                 // 0000000040E0: D1050005 20000D2D
	v_mul_f32_e64 v6, -v46, s6                                 // 0000000040E8: D1050006 20000D2E
	v_mul_f32_e64 v7, -v47, s6                                 // 0000000040F0: D1050007 20000D2F
	v_exp_f32_e32 v4, v4                                       // 0000000040F8: 7E084104
	v_exp_f32_e32 v5, v5                                       // 0000000040FC: 7E0A4105
	v_exp_f32_e32 v6, v6                                       // 000000004100: 7E0C4106
	v_exp_f32_e32 v7, v7                                       // 000000004104: 7E0E4107
	v_add_f32_e64 v4, v4, 1.0                                  // 000000004108: D1010004 0001E504
	v_add_f32_e64 v5, v5, 1.0                                  // 000000004110: D1010005 0001E505
	v_add_f32_e64 v6, v6, 1.0                                  // 000000004118: D1010006 0001E506
	v_add_f32_e64 v7, v7, 1.0                                  // 000000004120: D1010007 0001E507
	v_rcp_f32_e32 v4, v4                                       // 000000004128: 7E084504
	v_rcp_f32_e32 v5, v5                                       // 00000000412C: 7E0A4505
	v_rcp_f32_e32 v6, v6                                       // 000000004130: 7E0C4506
	v_rcp_f32_e32 v7, v7                                       // 000000004134: 7E0E4507
	v_mul_f32_e32 v44, v44, v4                                 // 000000004138: 0A58092C
	v_mul_f32_e32 v45, v45, v5                                 // 00000000413C: 0A5A0B2D
	v_mul_f32_e32 v46, v46, v6                                 // 000000004140: 0A5C0D2E
	v_mul_f32_e32 v47, v47, v7                                 // 000000004144: 0A5E0F2F
	v_mul_f32_e32 v44, v44, v76                                // 000000004148: 0A58992C
	v_mul_f32_e32 v45, v45, v77                                // 00000000414C: 0A5A9B2D
	v_mul_f32_e32 v46, v46, v78                                // 000000004150: 0A5C9D2E
	v_mul_f32_e32 v47, v47, v79                                // 000000004154: 0A5E9F2F
	v_mul_f32_e64 v4, -v48, s6                                 // 000000004158: D1050004 20000D30
	v_mul_f32_e64 v5, -v49, s6                                 // 000000004160: D1050005 20000D31
	v_mul_f32_e64 v6, -v50, s6                                 // 000000004168: D1050006 20000D32
	v_mul_f32_e64 v7, -v51, s6                                 // 000000004170: D1050007 20000D33
	v_exp_f32_e32 v4, v4                                       // 000000004178: 7E084104
	v_exp_f32_e32 v5, v5                                       // 00000000417C: 7E0A4105
	v_exp_f32_e32 v6, v6                                       // 000000004180: 7E0C4106
	v_exp_f32_e32 v7, v7                                       // 000000004184: 7E0E4107
	v_add_f32_e64 v4, v4, 1.0                                  // 000000004188: D1010004 0001E504
	v_add_f32_e64 v5, v5, 1.0                                  // 000000004190: D1010005 0001E505
	v_add_f32_e64 v6, v6, 1.0                                  // 000000004198: D1010006 0001E506
	v_add_f32_e64 v7, v7, 1.0                                  // 0000000041A0: D1010007 0001E507
	v_rcp_f32_e32 v4, v4                                       // 0000000041A8: 7E084504
	v_rcp_f32_e32 v5, v5                                       // 0000000041AC: 7E0A4505
	v_rcp_f32_e32 v6, v6                                       // 0000000041B0: 7E0C4506
	v_rcp_f32_e32 v7, v7                                       // 0000000041B4: 7E0E4507
	v_mul_f32_e32 v48, v48, v4                                 // 0000000041B8: 0A600930
	v_mul_f32_e32 v49, v49, v5                                 // 0000000041BC: 0A620B31
	v_mul_f32_e32 v50, v50, v6                                 // 0000000041C0: 0A640D32
	v_mul_f32_e32 v51, v51, v7                                 // 0000000041C4: 0A660F33
	v_mul_f32_e32 v48, v48, v80                                // 0000000041C8: 0A60A130
	v_mul_f32_e32 v49, v49, v81                                // 0000000041CC: 0A62A331
	v_mul_f32_e32 v50, v50, v82                                // 0000000041D0: 0A64A532
	v_mul_f32_e32 v51, v51, v83                                // 0000000041D4: 0A66A733
	v_mul_f32_e64 v4, -v52, s6                                 // 0000000041D8: D1050004 20000D34
	v_mul_f32_e64 v5, -v53, s6                                 // 0000000041E0: D1050005 20000D35
	v_mul_f32_e64 v6, -v54, s6                                 // 0000000041E8: D1050006 20000D36
	v_mul_f32_e64 v7, -v55, s6                                 // 0000000041F0: D1050007 20000D37
	v_exp_f32_e32 v4, v4                                       // 0000000041F8: 7E084104
	v_exp_f32_e32 v5, v5                                       // 0000000041FC: 7E0A4105
	v_exp_f32_e32 v6, v6                                       // 000000004200: 7E0C4106
	v_exp_f32_e32 v7, v7                                       // 000000004204: 7E0E4107
	v_add_f32_e64 v4, v4, 1.0                                  // 000000004208: D1010004 0001E504
	v_add_f32_e64 v5, v5, 1.0                                  // 000000004210: D1010005 0001E505
	v_add_f32_e64 v6, v6, 1.0                                  // 000000004218: D1010006 0001E506
	v_add_f32_e64 v7, v7, 1.0                                  // 000000004220: D1010007 0001E507
	v_rcp_f32_e32 v4, v4                                       // 000000004228: 7E084504
	v_rcp_f32_e32 v5, v5                                       // 00000000422C: 7E0A4505
	v_rcp_f32_e32 v6, v6                                       // 000000004230: 7E0C4506
	v_rcp_f32_e32 v7, v7                                       // 000000004234: 7E0E4507
	v_mul_f32_e32 v52, v52, v4                                 // 000000004238: 0A680934
	v_mul_f32_e32 v53, v53, v5                                 // 00000000423C: 0A6A0B35
	v_mul_f32_e32 v54, v54, v6                                 // 000000004240: 0A6C0D36
	v_mul_f32_e32 v55, v55, v7                                 // 000000004244: 0A6E0F37
	v_mul_f32_e32 v52, v52, v84                                // 000000004248: 0A68A934
	v_mul_f32_e32 v53, v53, v85                                // 00000000424C: 0A6AAB35
	v_mul_f32_e32 v54, v54, v86                                // 000000004250: 0A6CAD36
	v_mul_f32_e32 v55, v55, v87                                // 000000004254: 0A6EAF37
	v_mul_f32_e64 v4, -v56, s6                                 // 000000004258: D1050004 20000D38
	v_mul_f32_e64 v5, -v57, s6                                 // 000000004260: D1050005 20000D39
	v_mul_f32_e64 v6, -v58, s6                                 // 000000004268: D1050006 20000D3A
	v_mul_f32_e64 v7, -v59, s6                                 // 000000004270: D1050007 20000D3B
	v_exp_f32_e32 v4, v4                                       // 000000004278: 7E084104
	v_exp_f32_e32 v5, v5                                       // 00000000427C: 7E0A4105
	v_exp_f32_e32 v6, v6                                       // 000000004280: 7E0C4106
	v_exp_f32_e32 v7, v7                                       // 000000004284: 7E0E4107
	v_add_f32_e64 v4, v4, 1.0                                  // 000000004288: D1010004 0001E504
	v_add_f32_e64 v5, v5, 1.0                                  // 000000004290: D1010005 0001E505
	v_add_f32_e64 v6, v6, 1.0                                  // 000000004298: D1010006 0001E506
	v_add_f32_e64 v7, v7, 1.0                                  // 0000000042A0: D1010007 0001E507
	v_rcp_f32_e32 v4, v4                                       // 0000000042A8: 7E084504
	v_rcp_f32_e32 v5, v5                                       // 0000000042AC: 7E0A4505
	v_rcp_f32_e32 v6, v6                                       // 0000000042B0: 7E0C4506
	v_rcp_f32_e32 v7, v7                                       // 0000000042B4: 7E0E4507
	v_mul_f32_e32 v56, v56, v4                                 // 0000000042B8: 0A700938
	v_mul_f32_e32 v57, v57, v5                                 // 0000000042BC: 0A720B39
	v_mul_f32_e32 v58, v58, v6                                 // 0000000042C0: 0A740D3A
	v_mul_f32_e32 v59, v59, v7                                 // 0000000042C4: 0A760F3B
	v_mul_f32_e32 v56, v56, v88                                // 0000000042C8: 0A70B138
	v_mul_f32_e32 v57, v57, v89                                // 0000000042CC: 0A72B339
	v_mul_f32_e32 v58, v58, v90                                // 0000000042D0: 0A74B53A
	v_mul_f32_e32 v59, v59, v91                                // 0000000042D4: 0A76B73B
	v_mul_f32_e64 v4, -v60, s6                                 // 0000000042D8: D1050004 20000D3C
	v_mul_f32_e64 v5, -v61, s6                                 // 0000000042E0: D1050005 20000D3D
	v_mul_f32_e64 v6, -v62, s6                                 // 0000000042E8: D1050006 20000D3E
	v_mul_f32_e64 v7, -v63, s6                                 // 0000000042F0: D1050007 20000D3F
	v_exp_f32_e32 v4, v4                                       // 0000000042F8: 7E084104
	v_exp_f32_e32 v5, v5                                       // 0000000042FC: 7E0A4105
	v_exp_f32_e32 v6, v6                                       // 000000004300: 7E0C4106
	v_exp_f32_e32 v7, v7                                       // 000000004304: 7E0E4107
	v_add_f32_e64 v4, v4, 1.0                                  // 000000004308: D1010004 0001E504
	v_add_f32_e64 v5, v5, 1.0                                  // 000000004310: D1010005 0001E505
	v_add_f32_e64 v6, v6, 1.0                                  // 000000004318: D1010006 0001E506
	v_add_f32_e64 v7, v7, 1.0                                  // 000000004320: D1010007 0001E507
	v_rcp_f32_e32 v4, v4                                       // 000000004328: 7E084504
	v_rcp_f32_e32 v5, v5                                       // 00000000432C: 7E0A4505
	v_rcp_f32_e32 v6, v6                                       // 000000004330: 7E0C4506
	v_rcp_f32_e32 v7, v7                                       // 000000004334: 7E0E4507
	v_mul_f32_e32 v60, v60, v4                                 // 000000004338: 0A78093C
	v_mul_f32_e32 v61, v61, v5                                 // 00000000433C: 0A7A0B3D
	v_mul_f32_e32 v62, v62, v6                                 // 000000004340: 0A7C0D3E
	v_mul_f32_e32 v63, v63, v7                                 // 000000004344: 0A7E0F3F
	v_mul_f32_e32 v60, v60, v92                                // 000000004348: 0A78B93C
	v_mul_f32_e32 v61, v61, v93                                // 00000000434C: 0A7ABB3D
	v_mul_f32_e32 v62, v62, v94                                // 000000004350: 0A7CBD3E
	v_mul_f32_e32 v63, v63, v95                                // 000000004354: 0A7EBF3F
	v_mul_f32_e64 v4, -v64, s6                                 // 000000004358: D1050004 20000D40
	v_mul_f32_e64 v5, -v65, s6                                 // 000000004360: D1050005 20000D41
	v_mul_f32_e64 v6, -v66, s6                                 // 000000004368: D1050006 20000D42
	v_mul_f32_e64 v7, -v67, s6                                 // 000000004370: D1050007 20000D43
	v_exp_f32_e32 v4, v4                                       // 000000004378: 7E084104
	v_exp_f32_e32 v5, v5                                       // 00000000437C: 7E0A4105
	v_exp_f32_e32 v6, v6                                       // 000000004380: 7E0C4106
	v_exp_f32_e32 v7, v7                                       // 000000004384: 7E0E4107
	v_add_f32_e64 v4, v4, 1.0                                  // 000000004388: D1010004 0001E504
	v_add_f32_e64 v5, v5, 1.0                                  // 000000004390: D1010005 0001E505
	v_add_f32_e64 v6, v6, 1.0                                  // 000000004398: D1010006 0001E506
	v_add_f32_e64 v7, v7, 1.0                                  // 0000000043A0: D1010007 0001E507
	v_rcp_f32_e32 v4, v4                                       // 0000000043A8: 7E084504
	v_rcp_f32_e32 v5, v5                                       // 0000000043AC: 7E0A4505
	v_rcp_f32_e32 v6, v6                                       // 0000000043B0: 7E0C4506
	v_rcp_f32_e32 v7, v7                                       // 0000000043B4: 7E0E4507
	v_mul_f32_e32 v64, v64, v4                                 // 0000000043B8: 0A800940
	v_mul_f32_e32 v65, v65, v5                                 // 0000000043BC: 0A820B41
	v_mul_f32_e32 v66, v66, v6                                 // 0000000043C0: 0A840D42
	v_mul_f32_e32 v67, v67, v7                                 // 0000000043C4: 0A860F43
	v_mul_f32_e32 v64, v64, v96                                // 0000000043C8: 0A80C140
	v_mul_f32_e32 v65, v65, v97                                // 0000000043CC: 0A82C341
	v_mul_f32_e32 v66, v66, v98                                // 0000000043D0: 0A84C542
	v_mul_f32_e32 v67, v67, v99                                // 0000000043D4: 0A86C743
	v_mul_f32_e64 v4, -v68, s6                                 // 0000000043D8: D1050004 20000D44
	v_mul_f32_e64 v5, -v69, s6                                 // 0000000043E0: D1050005 20000D45
	v_mul_f32_e64 v6, -v70, s6                                 // 0000000043E8: D1050006 20000D46
	v_mul_f32_e64 v7, -v71, s6                                 // 0000000043F0: D1050007 20000D47
	v_exp_f32_e32 v4, v4                                       // 0000000043F8: 7E084104
	v_exp_f32_e32 v5, v5                                       // 0000000043FC: 7E0A4105
	v_exp_f32_e32 v6, v6                                       // 000000004400: 7E0C4106
	v_exp_f32_e32 v7, v7                                       // 000000004404: 7E0E4107
	v_add_f32_e64 v4, v4, 1.0                                  // 000000004408: D1010004 0001E504
	v_add_f32_e64 v5, v5, 1.0                                  // 000000004410: D1010005 0001E505
	v_add_f32_e64 v6, v6, 1.0                                  // 000000004418: D1010006 0001E506
	v_add_f32_e64 v7, v7, 1.0                                  // 000000004420: D1010007 0001E507
	v_rcp_f32_e32 v4, v4                                       // 000000004428: 7E084504
	v_rcp_f32_e32 v5, v5                                       // 00000000442C: 7E0A4505
	v_rcp_f32_e32 v6, v6                                       // 000000004430: 7E0C4506
	v_rcp_f32_e32 v7, v7                                       // 000000004434: 7E0E4507
	v_mul_f32_e32 v68, v68, v4                                 // 000000004438: 0A880944
	v_mul_f32_e32 v69, v69, v5                                 // 00000000443C: 0A8A0B45
	v_mul_f32_e32 v70, v70, v6                                 // 000000004440: 0A8C0D46
	v_mul_f32_e32 v71, v71, v7                                 // 000000004444: 0A8E0F47
	v_mul_f32_e32 v68, v68, v100                               // 000000004448: 0A88C944
	v_mul_f32_e32 v69, v69, v101                               // 00000000444C: 0A8ACB45
	v_mul_f32_e32 v70, v70, v102                               // 000000004450: 0A8CCD46
	v_mul_f32_e32 v71, v71, v103                               // 000000004454: 0A8ECF47
	v_mul_f32_e64 v4, -v72, s6                                 // 000000004458: D1050004 20000D48
	v_mul_f32_e64 v5, -v73, s6                                 // 000000004460: D1050005 20000D49
	v_mul_f32_e64 v6, -v74, s6                                 // 000000004468: D1050006 20000D4A
	v_mul_f32_e64 v7, -v75, s6                                 // 000000004470: D1050007 20000D4B
	v_exp_f32_e32 v4, v4                                       // 000000004478: 7E084104
	v_exp_f32_e32 v5, v5                                       // 00000000447C: 7E0A4105
	v_exp_f32_e32 v6, v6                                       // 000000004480: 7E0C4106
	v_exp_f32_e32 v7, v7                                       // 000000004484: 7E0E4107
	v_add_f32_e64 v4, v4, 1.0                                  // 000000004488: D1010004 0001E504
	v_add_f32_e64 v5, v5, 1.0                                  // 000000004490: D1010005 0001E505
	v_add_f32_e64 v6, v6, 1.0                                  // 000000004498: D1010006 0001E506
	v_add_f32_e64 v7, v7, 1.0                                  // 0000000044A0: D1010007 0001E507
	v_rcp_f32_e32 v4, v4                                       // 0000000044A8: 7E084504
	v_rcp_f32_e32 v5, v5                                       // 0000000044AC: 7E0A4505
	v_rcp_f32_e32 v6, v6                                       // 0000000044B0: 7E0C4506
	v_rcp_f32_e32 v7, v7                                       // 0000000044B4: 7E0E4507
	v_mul_f32_e32 v72, v72, v4                                 // 0000000044B8: 0A900948
	v_mul_f32_e32 v73, v73, v5                                 // 0000000044BC: 0A920B49
	v_mul_f32_e32 v74, v74, v6                                 // 0000000044C0: 0A940D4A
	v_mul_f32_e32 v75, v75, v7                                 // 0000000044C4: 0A960F4B
	v_mul_f32_e32 v72, v72, v104                               // 0000000044C8: 0A90D148
	v_mul_f32_e32 v73, v73, v105                               // 0000000044CC: 0A92D349
	v_mul_f32_e32 v74, v74, v106                               // 0000000044D0: 0A94D54A
	v_mul_f32_e32 v75, v75, v107                               // 0000000044D4: 0A96D74B

00000000000044d8 <label_06B6>:
	v_cmp_u_f32_e64 s[46:47], v44, v44                         // 0000000044D8: D048002E 0002592C
	v_add3_u32 v16, v44, v19, 1                                // 0000000044E0: D1FF0010 0206272C
	v_cndmask_b32_e64 v4, v16, v18, s[46:47]                   // 0000000044E8: D1000004 00BA2510
	v_cmp_u_f32_e64 s[46:47], v45, v45                         // 0000000044F0: D048002E 00025B2D
	v_add3_u32 v16, v45, v19, 1                                // 0000000044F8: D1FF0010 0206272D
	v_cndmask_b32_e64 v5, v16, v18, s[46:47]                   // 000000004500: D1000005 00BA2510
	v_perm_b32 v44, v5, v4, s52                                // 000000004508: D1ED002C 00D20905
	v_cmp_u_f32_e64 s[46:47], v46, v46                         // 000000004510: D048002E 00025D2E
	v_add3_u32 v16, v46, v19, 1                                // 000000004518: D1FF0010 0206272E
	v_cndmask_b32_e64 v4, v16, v18, s[46:47]                   // 000000004520: D1000004 00BA2510
	v_cmp_u_f32_e64 s[46:47], v47, v47                         // 000000004528: D048002E 00025F2F
	v_add3_u32 v16, v47, v19, 1                                // 000000004530: D1FF0010 0206272F
	v_cndmask_b32_e64 v5, v16, v18, s[46:47]                   // 000000004538: D1000005 00BA2510
	v_perm_b32 v45, v5, v4, s52                                // 000000004540: D1ED002D 00D20905
	v_cmp_u_f32_e64 s[46:47], v48, v48                         // 000000004548: D048002E 00026130
	v_add3_u32 v16, v48, v19, 1                                // 000000004550: D1FF0010 02062730
	v_cndmask_b32_e64 v4, v16, v18, s[46:47]                   // 000000004558: D1000004 00BA2510
	v_cmp_u_f32_e64 s[46:47], v49, v49                         // 000000004560: D048002E 00026331
	v_add3_u32 v16, v49, v19, 1                                // 000000004568: D1FF0010 02062731
	v_cndmask_b32_e64 v5, v16, v18, s[46:47]                   // 000000004570: D1000005 00BA2510
	v_perm_b32 v46, v5, v4, s52                                // 000000004578: D1ED002E 00D20905
	v_cmp_u_f32_e64 s[46:47], v50, v50                         // 000000004580: D048002E 00026532
	v_add3_u32 v16, v50, v19, 1                                // 000000004588: D1FF0010 02062732
	v_cndmask_b32_e64 v4, v16, v18, s[46:47]                   // 000000004590: D1000004 00BA2510
	v_cmp_u_f32_e64 s[46:47], v51, v51                         // 000000004598: D048002E 00026733
	v_add3_u32 v16, v51, v19, 1                                // 0000000045A0: D1FF0010 02062733
	v_cndmask_b32_e64 v5, v16, v18, s[46:47]                   // 0000000045A8: D1000005 00BA2510
	v_perm_b32 v47, v5, v4, s52                                // 0000000045B0: D1ED002F 00D20905
	v_cmp_u_f32_e64 s[46:47], v52, v52                         // 0000000045B8: D048002E 00026934
	v_add3_u32 v16, v52, v19, 1                                // 0000000045C0: D1FF0010 02062734
	v_cndmask_b32_e64 v4, v16, v18, s[46:47]                   // 0000000045C8: D1000004 00BA2510
	v_cmp_u_f32_e64 s[46:47], v53, v53                         // 0000000045D0: D048002E 00026B35
	v_add3_u32 v16, v53, v19, 1                                // 0000000045D8: D1FF0010 02062735
	v_cndmask_b32_e64 v5, v16, v18, s[46:47]                   // 0000000045E0: D1000005 00BA2510
	v_perm_b32 v48, v5, v4, s52                                // 0000000045E8: D1ED0030 00D20905
	v_cmp_u_f32_e64 s[46:47], v54, v54                         // 0000000045F0: D048002E 00026D36
	v_add3_u32 v16, v54, v19, 1                                // 0000000045F8: D1FF0010 02062736
	v_cndmask_b32_e64 v4, v16, v18, s[46:47]                   // 000000004600: D1000004 00BA2510
	v_cmp_u_f32_e64 s[46:47], v55, v55                         // 000000004608: D048002E 00026F37
	v_add3_u32 v16, v55, v19, 1                                // 000000004610: D1FF0010 02062737
	v_cndmask_b32_e64 v5, v16, v18, s[46:47]                   // 000000004618: D1000005 00BA2510
	v_perm_b32 v49, v5, v4, s52                                // 000000004620: D1ED0031 00D20905
	v_cmp_u_f32_e64 s[46:47], v56, v56                         // 000000004628: D048002E 00027138
	v_add3_u32 v16, v56, v19, 1                                // 000000004630: D1FF0010 02062738
	v_cndmask_b32_e64 v4, v16, v18, s[46:47]                   // 000000004638: D1000004 00BA2510
	v_cmp_u_f32_e64 s[46:47], v57, v57                         // 000000004640: D048002E 00027339
	v_add3_u32 v16, v57, v19, 1                                // 000000004648: D1FF0010 02062739
	v_cndmask_b32_e64 v5, v16, v18, s[46:47]                   // 000000004650: D1000005 00BA2510
	v_perm_b32 v50, v5, v4, s52                                // 000000004658: D1ED0032 00D20905
	v_cmp_u_f32_e64 s[46:47], v58, v58                         // 000000004660: D048002E 0002753A
	v_add3_u32 v16, v58, v19, 1                                // 000000004668: D1FF0010 0206273A
	v_cndmask_b32_e64 v4, v16, v18, s[46:47]                   // 000000004670: D1000004 00BA2510
	v_cmp_u_f32_e64 s[46:47], v59, v59                         // 000000004678: D048002E 0002773B
	v_add3_u32 v16, v59, v19, 1                                // 000000004680: D1FF0010 0206273B
	v_cndmask_b32_e64 v5, v16, v18, s[46:47]                   // 000000004688: D1000005 00BA2510
	v_perm_b32 v51, v5, v4, s52                                // 000000004690: D1ED0033 00D20905
	v_cmp_u_f32_e64 s[46:47], v60, v60                         // 000000004698: D048002E 0002793C
	v_add3_u32 v16, v60, v19, 1                                // 0000000046A0: D1FF0010 0206273C
	v_cndmask_b32_e64 v4, v16, v18, s[46:47]                   // 0000000046A8: D1000004 00BA2510
	v_cmp_u_f32_e64 s[46:47], v61, v61                         // 0000000046B0: D048002E 00027B3D
	v_add3_u32 v16, v61, v19, 1                                // 0000000046B8: D1FF0010 0206273D
	v_cndmask_b32_e64 v5, v16, v18, s[46:47]                   // 0000000046C0: D1000005 00BA2510
	v_perm_b32 v52, v5, v4, s52                                // 0000000046C8: D1ED0034 00D20905
	v_cmp_u_f32_e64 s[46:47], v62, v62                         // 0000000046D0: D048002E 00027D3E
	v_add3_u32 v16, v62, v19, 1                                // 0000000046D8: D1FF0010 0206273E
	v_cndmask_b32_e64 v4, v16, v18, s[46:47]                   // 0000000046E0: D1000004 00BA2510
	v_cmp_u_f32_e64 s[46:47], v63, v63                         // 0000000046E8: D048002E 00027F3F
	v_add3_u32 v16, v63, v19, 1                                // 0000000046F0: D1FF0010 0206273F
	v_cndmask_b32_e64 v5, v16, v18, s[46:47]                   // 0000000046F8: D1000005 00BA2510
	v_perm_b32 v53, v5, v4, s52                                // 000000004700: D1ED0035 00D20905
	v_cmp_u_f32_e64 s[46:47], v64, v64                         // 000000004708: D048002E 00028140
	v_add3_u32 v16, v64, v19, 1                                // 000000004710: D1FF0010 02062740
	v_cndmask_b32_e64 v4, v16, v18, s[46:47]                   // 000000004718: D1000004 00BA2510
	v_cmp_u_f32_e64 s[46:47], v65, v65                         // 000000004720: D048002E 00028341
	v_add3_u32 v16, v65, v19, 1                                // 000000004728: D1FF0010 02062741
	v_cndmask_b32_e64 v5, v16, v18, s[46:47]                   // 000000004730: D1000005 00BA2510
	v_perm_b32 v54, v5, v4, s52                                // 000000004738: D1ED0036 00D20905
	v_cmp_u_f32_e64 s[46:47], v66, v66                         // 000000004740: D048002E 00028542
	v_add3_u32 v16, v66, v19, 1                                // 000000004748: D1FF0010 02062742
	v_cndmask_b32_e64 v4, v16, v18, s[46:47]                   // 000000004750: D1000004 00BA2510
	v_cmp_u_f32_e64 s[46:47], v67, v67                         // 000000004758: D048002E 00028743
	v_add3_u32 v16, v67, v19, 1                                // 000000004760: D1FF0010 02062743
	v_cndmask_b32_e64 v5, v16, v18, s[46:47]                   // 000000004768: D1000005 00BA2510
	v_perm_b32 v55, v5, v4, s52                                // 000000004770: D1ED0037 00D20905
	v_cmp_u_f32_e64 s[46:47], v68, v68                         // 000000004778: D048002E 00028944
	v_add3_u32 v16, v68, v19, 1                                // 000000004780: D1FF0010 02062744
	v_cndmask_b32_e64 v4, v16, v18, s[46:47]                   // 000000004788: D1000004 00BA2510
	v_cmp_u_f32_e64 s[46:47], v69, v69                         // 000000004790: D048002E 00028B45
	v_add3_u32 v16, v69, v19, 1                                // 000000004798: D1FF0010 02062745
	v_cndmask_b32_e64 v5, v16, v18, s[46:47]                   // 0000000047A0: D1000005 00BA2510
	v_perm_b32 v56, v5, v4, s52                                // 0000000047A8: D1ED0038 00D20905
	v_cmp_u_f32_e64 s[46:47], v70, v70                         // 0000000047B0: D048002E 00028D46
	v_add3_u32 v16, v70, v19, 1                                // 0000000047B8: D1FF0010 02062746
	v_cndmask_b32_e64 v4, v16, v18, s[46:47]                   // 0000000047C0: D1000004 00BA2510
	v_cmp_u_f32_e64 s[46:47], v71, v71                         // 0000000047C8: D048002E 00028F47
	v_add3_u32 v16, v71, v19, 1                                // 0000000047D0: D1FF0010 02062747
	v_cndmask_b32_e64 v5, v16, v18, s[46:47]                   // 0000000047D8: D1000005 00BA2510
	v_perm_b32 v57, v5, v4, s52                                // 0000000047E0: D1ED0039 00D20905
	v_cmp_u_f32_e64 s[46:47], v72, v72                         // 0000000047E8: D048002E 00029148
	v_add3_u32 v16, v72, v19, 1                                // 0000000047F0: D1FF0010 02062748
	v_cndmask_b32_e64 v4, v16, v18, s[46:47]                   // 0000000047F8: D1000004 00BA2510
	v_cmp_u_f32_e64 s[46:47], v73, v73                         // 000000004800: D048002E 00029349
	v_add3_u32 v16, v73, v19, 1                                // 000000004808: D1FF0010 02062749
	v_cndmask_b32_e64 v5, v16, v18, s[46:47]                   // 000000004810: D1000005 00BA2510
	v_perm_b32 v58, v5, v4, s52                                // 000000004818: D1ED003A 00D20905
	v_cmp_u_f32_e64 s[46:47], v74, v74                         // 000000004820: D048002E 0002954A
	v_add3_u32 v16, v74, v19, 1                                // 000000004828: D1FF0010 0206274A
	v_cndmask_b32_e64 v4, v16, v18, s[46:47]                   // 000000004830: D1000004 00BA2510
	v_cmp_u_f32_e64 s[46:47], v75, v75                         // 000000004838: D048002E 0002974B
	v_add3_u32 v16, v75, v19, 1                                // 000000004840: D1FF0010 0206274B
	v_cndmask_b32_e64 v5, v16, v18, s[46:47]                   // 000000004848: D1000005 00BA2510
	v_perm_b32 v59, v5, v4, s52                                // 000000004850: D1ED003B 00D20905
	ds_write_b64 v20, v[44:45]                                 // 000000004858: D89A0000 00002C14
	ds_write_b64 v20, v[46:47] offset:8704                     // 000000004860: D89A2200 00002E14
	ds_write_b64 v20, v[48:49] offset:2176                     // 000000004868: D89A0880 00003014
	ds_write_b64 v20, v[50:51] offset:10880                    // 000000004870: D89A2A80 00003214
	ds_write_b64 v20, v[52:53] offset:4352                     // 000000004878: D89A1100 00003414
	ds_write_b64 v20, v[54:55] offset:13056                    // 000000004880: D89A3300 00003614
	ds_write_b64 v20, v[56:57] offset:6528                     // 000000004888: D89A1980 00003814
	ds_write_b64 v20, v[58:59] offset:15232                    // 000000004890: D89A3B80 00003A14
	v_lshrrev_b32_e32 v4, 5, v0                                // 000000004898: 20080085
	v_xor_b32_e32 v5, 1, v4                                    // 00000000489C: 2A0A0881
	s_mul_i32 s60, s65, 2                                      // 0000000048A0: 923C8241
	s_cmp_eq_u32 s88, 0                                        // 0000000048A4: BF068058
	s_cselect_b32 s61, 1, 4                                    // 0000000048A8: 853D8481
	s_mul_i32 s60, s61, s60                                    // 0000000048AC: 923C3C3D
	v_readlane_b32 s82, v3, 0                                  // 0000000048B0: D2890052 00010103
	s_lshr_b32 s61, s82, 24                                    // 0000000048B8: 8F3D9852
	s_and_b32 s82, s82, 0xffffff                               // 0000000048BC: 8652FF52 00FFFFFF
	s_mul_i32 s82, s82, s71                                    // 0000000048C4: 92524752
	s_mul_i32 s61, s60, s61                                    // 0000000048C8: 923D3D3C
	s_add_u32 s82, s82, s61                                    // 0000000048CC: 80523D52
	v_mul_lo_u32 v6, v5, s82                                   // 0000000048D0: D2850006 0000A505
	v_readlane_b32 s82, v3, 1                                  // 0000000048D8: D2890052 00010303
	s_lshr_b32 s61, s82, 24                                    // 0000000048E0: 8F3D9852
	s_and_b32 s82, s82, 0xffffff                               // 0000000048E4: 8652FF52 00FFFFFF
	s_mul_i32 s82, s82, s71                                    // 0000000048EC: 92524752
	s_mul_i32 s61, s60, s61                                    // 0000000048F0: 923D3D3C
	s_add_u32 s82, s82, s61                                    // 0000000048F4: 80523D52
	v_mul_lo_u32 v7, v4, s82                                   // 0000000048F8: D2850007 0000A504
	v_add_u32_e32 v36, v6, v7                                  // 000000004900: 68480F06
	v_readlane_b32 s82, v3, 2                                  // 000000004904: D2890052 00010503
	s_lshr_b32 s61, s82, 24                                    // 00000000490C: 8F3D9852
	s_and_b32 s82, s82, 0xffffff                               // 000000004910: 8652FF52 00FFFFFF
	s_mul_i32 s82, s82, s71                                    // 000000004918: 92524752
	s_mul_i32 s61, s60, s61                                    // 00000000491C: 923D3D3C
	s_add_u32 s82, s82, s61                                    // 000000004920: 80523D52
	v_mul_lo_u32 v6, v5, s82                                   // 000000004924: D2850006 0000A505
	v_readlane_b32 s82, v3, 3                                  // 00000000492C: D2890052 00010703
	s_lshr_b32 s61, s82, 24                                    // 000000004934: 8F3D9852
	s_and_b32 s82, s82, 0xffffff                               // 000000004938: 8652FF52 00FFFFFF
	s_mul_i32 s82, s82, s71                                    // 000000004940: 92524752
	s_mul_i32 s61, s60, s61                                    // 000000004944: 923D3D3C
	s_add_u32 s82, s82, s61                                    // 000000004948: 80523D52
	v_mul_lo_u32 v7, v4, s82                                   // 00000000494C: D2850007 0000A504
	v_add_u32_e32 v37, v6, v7                                  // 000000004954: 684A0F06
	v_readlane_b32 s82, v3, 4                                  // 000000004958: D2890052 00010903
	s_lshr_b32 s61, s82, 24                                    // 000000004960: 8F3D9852
	s_and_b32 s82, s82, 0xffffff                               // 000000004964: 8652FF52 00FFFFFF
	s_mul_i32 s82, s82, s71                                    // 00000000496C: 92524752
	s_mul_i32 s61, s60, s61                                    // 000000004970: 923D3D3C
	s_add_u32 s82, s82, s61                                    // 000000004974: 80523D52
	v_mul_lo_u32 v6, v5, s82                                   // 000000004978: D2850006 0000A505
	v_readlane_b32 s82, v3, 5                                  // 000000004980: D2890052 00010B03
	s_lshr_b32 s61, s82, 24                                    // 000000004988: 8F3D9852
	s_and_b32 s82, s82, 0xffffff                               // 00000000498C: 8652FF52 00FFFFFF
	s_mul_i32 s82, s82, s71                                    // 000000004994: 92524752
	s_mul_i32 s61, s60, s61                                    // 000000004998: 923D3D3C
	s_add_u32 s82, s82, s61                                    // 00000000499C: 80523D52
	v_mul_lo_u32 v7, v4, s82                                   // 0000000049A0: D2850007 0000A504
	v_add_u32_e32 v38, v6, v7                                  // 0000000049A8: 684C0F06
	v_readlane_b32 s82, v3, 6                                  // 0000000049AC: D2890052 00010D03
	s_lshr_b32 s61, s82, 24                                    // 0000000049B4: 8F3D9852
	s_and_b32 s82, s82, 0xffffff                               // 0000000049B8: 8652FF52 00FFFFFF
	s_mul_i32 s82, s82, s71                                    // 0000000049C0: 92524752
	s_mul_i32 s61, s60, s61                                    // 0000000049C4: 923D3D3C
	s_add_u32 s82, s82, s61                                    // 0000000049C8: 80523D52
	v_mul_lo_u32 v6, v5, s82                                   // 0000000049CC: D2850006 0000A505
	v_readlane_b32 s82, v3, 7                                  // 0000000049D4: D2890052 00010F03
	s_lshr_b32 s61, s82, 24                                    // 0000000049DC: 8F3D9852
	s_and_b32 s82, s82, 0xffffff                               // 0000000049E0: 8652FF52 00FFFFFF
	s_mul_i32 s82, s82, s71                                    // 0000000049E8: 92524752
	s_mul_i32 s61, s60, s61                                    // 0000000049EC: 923D3D3C
	s_add_u32 s82, s82, s61                                    // 0000000049F0: 80523D52
	v_mul_lo_u32 v7, v4, s82                                   // 0000000049F4: D2850007 0000A504
	v_add_u32_e32 v39, v6, v7                                  // 0000000049FC: 684E0F06
	v_and_b32_e32 v4, 31, v0                                   // 000000004A00: 2608009F
	v_lshrrev_b32_e32 v4, 1, v4                                // 000000004A04: 20080881
	s_cmp_eq_u32 s88, 0                                        // 000000004A08: BF068058
	s_cselect_b32 s61, 2, 4                                    // 000000004A0C: 853D8482
	v_mul_lo_u32 v4, v4, s61                                   // 000000004A10: D2850004 00007B04
	v_and_b32_e64 v5, v0, 1                                    // 000000004A18: D1130005 00010300
	v_add_u32_e32 v4, v4, v5                                   // 000000004A20: 68080B04
	v_lshlrev_b32_e32 v4, 2, v4                                // 000000004A24: 24080882
	v_add_u32_e32 v36, v36, v4                                 // 000000004A28: 68480924
	v_add_u32_e32 v37, v37, v4                                 // 000000004A2C: 684A0925
	v_add_u32_e32 v38, v38, v4                                 // 000000004A30: 684C0926
	v_add_u32_e32 v39, v39, v4                                 // 000000004A34: 684E0927
	s_waitcnt lgkmcnt(0)                                       // 000000004A38: BF8CC07F
	s_barrier                                                  // 000000004A3C: BF8A0000
	ds_read_b32 v44, v21                                       // 000000004A40: D86C0000 2C000015
	ds_read_b32 v45, v21 offset:64                             // 000000004A48: D86C0040 2D000015
	ds_read_b32 v46, v21 offset:2176                           // 000000004A50: D86C0880 2E000015
	ds_read_b32 v47, v21 offset:2240                           // 000000004A58: D86C08C0 2F000015
	ds_read_b32 v48, v21 offset:4352                           // 000000004A60: D86C1100 30000015
	ds_read_b32 v49, v21 offset:4416                           // 000000004A68: D86C1140 31000015
	ds_read_b32 v50, v21 offset:6528                           // 000000004A70: D86C1980 32000015
	ds_read_b32 v51, v21 offset:6592                           // 000000004A78: D86C19C0 33000015
	ds_read_b32 v52, v21 offset:8704                           // 000000004A80: D86C2200 34000015
	ds_read_b32 v53, v21 offset:8768                           // 000000004A88: D86C2240 35000015
	ds_read_b32 v54, v21 offset:10880                          // 000000004A90: D86C2A80 36000015
	ds_read_b32 v55, v21 offset:10944                          // 000000004A98: D86C2AC0 37000015
	ds_read_b32 v56, v21 offset:13056                          // 000000004AA0: D86C3300 38000015
	ds_read_b32 v57, v21 offset:13120                          // 000000004AA8: D86C3340 39000015
	ds_read_b32 v58, v21 offset:15232                          // 000000004AB0: D86C3B80 3A000015
	ds_read_b32 v59, v21 offset:15296                          // 000000004AB8: D86C3BC0 3B000015
	s_waitcnt lgkmcnt(0)                                       // 000000004AC0: BF8CC07F
	s_mov_b32 s36, -1                                          // 000000004AC4: BEA400C1
	s_mov_b32 s37, -1                                          // 000000004AC8: BEA500C1
	v_mov_b32_e32 v7, 0                                        // 000000004ACC: 7E0E0280
	s_or_b32 s9, s9, 0x40000                                   // 000000004AD0: 8709FF09 00040000
	s_mov_b64 exec, s[36:37]                                   // 000000004AD8: BEFE0124
	v_mov_b32_e32 v6, v36                                      // 000000004ADC: 7E0C0324
	s_mov_b64 s[60:61], 0                                      // 000000004AE0: BEBC0180
	v_readlane_b32 s82, v3, 0                                  // 000000004AE4: D2890052 00010103
	s_and_b32 s82, s82, 0xffffff                               // 000000004AEC: 8652FF52 00FFFFFF
	s_cmp_lt_u32 s82, s66                                      // 000000004AF4: BF0A4252
	s_cselect_b32 s20, s36, s60                                // 000000004AF8: 85143C24
	v_readlane_b32 s82, v3, 1                                  // 000000004AFC: D2890052 00010303
	s_and_b32 s82, s82, 0xffffff                               // 000000004B04: 8652FF52 00FFFFFF
	s_cmp_lt_u32 s82, s66                                      // 000000004B0C: BF0A4252
	s_cselect_b32 s21, s36, s60                                // 000000004B10: 85153C24
	s_mov_b64 exec, s[20:21]                                   // 000000004B14: BEFE0114
	buffer_store_dword v44, v6, s[8:11], 0 offen               // 000000004B18: E0701000 80022C06
	buffer_store_dword v46, v6, s[8:11], 0 offen offset:128    // 000000004B20: E0701080 80022E06
	buffer_store_dword v48, v6, s[8:11], 0 offen offset:256    // 000000004B28: E0701100 80023006
	buffer_store_dword v50, v6, s[8:11], 0 offen offset:384    // 000000004B30: E0701180 80023206
	s_mov_b64 exec, s[36:37]                                   // 000000004B38: BEFE0124
	v_mov_b32_e32 v6, v37                                      // 000000004B3C: 7E0C0325
	s_mov_b64 s[60:61], 0                                      // 000000004B40: BEBC0180
	v_readlane_b32 s82, v3, 2                                  // 000000004B44: D2890052 00010503
	s_and_b32 s82, s82, 0xffffff                               // 000000004B4C: 8652FF52 00FFFFFF
	s_cmp_lt_u32 s82, s66                                      // 000000004B54: BF0A4252
	s_cselect_b32 s20, s36, s60                                // 000000004B58: 85143C24
	v_readlane_b32 s82, v3, 3                                  // 000000004B5C: D2890052 00010703
	s_and_b32 s82, s82, 0xffffff                               // 000000004B64: 8652FF52 00FFFFFF
	s_cmp_lt_u32 s82, s66                                      // 000000004B6C: BF0A4252
	s_cselect_b32 s21, s36, s60                                // 000000004B70: 85153C24
	s_mov_b64 exec, s[20:21]                                   // 000000004B74: BEFE0114
	buffer_store_dword v45, v6, s[8:11], 0 offen               // 000000004B78: E0701000 80022D06
	buffer_store_dword v47, v6, s[8:11], 0 offen offset:128    // 000000004B80: E0701080 80022F06
	buffer_store_dword v49, v6, s[8:11], 0 offen offset:256    // 000000004B88: E0701100 80023106
	buffer_store_dword v51, v6, s[8:11], 0 offen offset:384    // 000000004B90: E0701180 80023306
	s_mov_b64 exec, s[36:37]                                   // 000000004B98: BEFE0124
	v_mov_b32_e32 v6, v38                                      // 000000004B9C: 7E0C0326
	s_mov_b64 s[60:61], 0                                      // 000000004BA0: BEBC0180
	v_readlane_b32 s82, v3, 4                                  // 000000004BA4: D2890052 00010903
	s_and_b32 s82, s82, 0xffffff                               // 000000004BAC: 8652FF52 00FFFFFF
	s_cmp_lt_u32 s82, s66                                      // 000000004BB4: BF0A4252
	s_cselect_b32 s20, s36, s60                                // 000000004BB8: 85143C24
	v_readlane_b32 s82, v3, 5                                  // 000000004BBC: D2890052 00010B03
	s_and_b32 s82, s82, 0xffffff                               // 000000004BC4: 8652FF52 00FFFFFF
	s_cmp_lt_u32 s82, s66                                      // 000000004BCC: BF0A4252
	s_cselect_b32 s21, s36, s60                                // 000000004BD0: 85153C24
	s_mov_b64 exec, s[20:21]                                   // 000000004BD4: BEFE0114
	buffer_store_dword v52, v6, s[8:11], 0 offen               // 000000004BD8: E0701000 80023406
	buffer_store_dword v54, v6, s[8:11], 0 offen offset:128    // 000000004BE0: E0701080 80023606
	buffer_store_dword v56, v6, s[8:11], 0 offen offset:256    // 000000004BE8: E0701100 80023806
	buffer_store_dword v58, v6, s[8:11], 0 offen offset:384    // 000000004BF0: E0701180 80023A06
	s_mov_b64 exec, s[36:37]                                   // 000000004BF8: BEFE0124
	v_mov_b32_e32 v6, v39                                      // 000000004BFC: 7E0C0327
	s_mov_b64 s[60:61], 0                                      // 000000004C00: BEBC0180
	v_readlane_b32 s82, v3, 6                                  // 000000004C04: D2890052 00010D03
	s_and_b32 s82, s82, 0xffffff                               // 000000004C0C: 8652FF52 00FFFFFF
	s_cmp_lt_u32 s82, s66                                      // 000000004C14: BF0A4252
	s_cselect_b32 s20, s36, s60                                // 000000004C18: 85143C24
	v_readlane_b32 s82, v3, 7                                  // 000000004C1C: D2890052 00010F03
	s_and_b32 s82, s82, 0xffffff                               // 000000004C24: 8652FF52 00FFFFFF
	s_cmp_lt_u32 s82, s66                                      // 000000004C2C: BF0A4252
	s_cselect_b32 s21, s36, s60                                // 000000004C30: 85153C24
	s_mov_b64 exec, s[20:21]                                   // 000000004C34: BEFE0114
	buffer_store_dword v53, v6, s[8:11], 0 offen               // 000000004C38: E0701000 80023506
	buffer_store_dword v55, v6, s[8:11], 0 offen offset:128    // 000000004C40: E0701080 80023706
	buffer_store_dword v57, v6, s[8:11], 0 offen offset:256    // 000000004C48: E0701100 80023906
	buffer_store_dword v59, v6, s[8:11], 0 offen offset:384    // 000000004C50: E0701180 80023B06
	s_mov_b64 exec, s[36:37]                                   // 000000004C58: BEFE0124
	s_branch label_14B5                                        // 000000004C5C: BF820C1A

0000000000004c60 <label_0898>:
	ds_write_b64 v20, v[44:45]                                 // 000000004C60: D89A0000 00002C14
	ds_write_b64 v20, v[48:49] offset:8704                     // 000000004C68: D89A2200 00003014
	ds_write_b64 v20, v[52:53] offset:2176                     // 000000004C70: D89A0880 00003414
	ds_write_b64 v20, v[56:57] offset:10880                    // 000000004C78: D89A2A80 00003814
	ds_write_b64 v20, v[60:61] offset:4352                     // 000000004C80: D89A1100 00003C14
	ds_write_b64 v20, v[64:65] offset:13056                    // 000000004C88: D89A3300 00004014
	ds_write_b64 v20, v[68:69] offset:6528                     // 000000004C90: D89A1980 00004414
	ds_write_b64 v20, v[72:73] offset:15232                    // 000000004C98: D89A3B80 00004814
	v_lshrrev_b32_e32 v4, 5, v0                                // 000000004CA0: 20080085
	v_xor_b32_e32 v5, 1, v4                                    // 000000004CA4: 2A0A0881
	s_mul_i32 s60, s65, 2                                      // 000000004CA8: 923C8241
	s_cmp_eq_u32 s88, 0                                        // 000000004CAC: BF068058
	s_cselect_b32 s61, 1, 4                                    // 000000004CB0: 853D8481
	s_mul_i32 s60, s61, s60                                    // 000000004CB4: 923C3C3D
	v_readlane_b32 s82, v3, 0                                  // 000000004CB8: D2890052 00010103
	s_lshr_b32 s61, s82, 24                                    // 000000004CC0: 8F3D9852
	s_and_b32 s82, s82, 0xffffff                               // 000000004CC4: 8652FF52 00FFFFFF
	s_mul_i32 s82, s82, s71                                    // 000000004CCC: 92524752
	s_mul_i32 s61, s60, s61                                    // 000000004CD0: 923D3D3C
	s_add_u32 s82, s82, s61                                    // 000000004CD4: 80523D52
	v_mul_lo_u32 v6, v5, s82                                   // 000000004CD8: D2850006 0000A505
	v_readlane_b32 s82, v3, 1                                  // 000000004CE0: D2890052 00010303
	s_lshr_b32 s61, s82, 24                                    // 000000004CE8: 8F3D9852
	s_and_b32 s82, s82, 0xffffff                               // 000000004CEC: 8652FF52 00FFFFFF
	s_mul_i32 s82, s82, s71                                    // 000000004CF4: 92524752
	s_mul_i32 s61, s60, s61                                    // 000000004CF8: 923D3D3C
	s_add_u32 s82, s82, s61                                    // 000000004CFC: 80523D52
	v_mul_lo_u32 v7, v4, s82                                   // 000000004D00: D2850007 0000A504
	v_add_u32_e32 v36, v6, v7                                  // 000000004D08: 68480F06
	v_readlane_b32 s82, v3, 2                                  // 000000004D0C: D2890052 00010503
	s_lshr_b32 s61, s82, 24                                    // 000000004D14: 8F3D9852
	s_and_b32 s82, s82, 0xffffff                               // 000000004D18: 8652FF52 00FFFFFF
	s_mul_i32 s82, s82, s71                                    // 000000004D20: 92524752
	s_mul_i32 s61, s60, s61                                    // 000000004D24: 923D3D3C
	s_add_u32 s82, s82, s61                                    // 000000004D28: 80523D52
	v_mul_lo_u32 v6, v5, s82                                   // 000000004D2C: D2850006 0000A505
	v_readlane_b32 s82, v3, 3                                  // 000000004D34: D2890052 00010703
	s_lshr_b32 s61, s82, 24                                    // 000000004D3C: 8F3D9852
	s_and_b32 s82, s82, 0xffffff                               // 000000004D40: 8652FF52 00FFFFFF
	s_mul_i32 s82, s82, s71                                    // 000000004D48: 92524752
	s_mul_i32 s61, s60, s61                                    // 000000004D4C: 923D3D3C
	s_add_u32 s82, s82, s61                                    // 000000004D50: 80523D52
	v_mul_lo_u32 v7, v4, s82                                   // 000000004D54: D2850007 0000A504
	v_add_u32_e32 v37, v6, v7                                  // 000000004D5C: 684A0F06
	v_readlane_b32 s82, v3, 4                                  // 000000004D60: D2890052 00010903
	s_lshr_b32 s61, s82, 24                                    // 000000004D68: 8F3D9852
	s_and_b32 s82, s82, 0xffffff                               // 000000004D6C: 8652FF52 00FFFFFF
	s_mul_i32 s82, s82, s71                                    // 000000004D74: 92524752
	s_mul_i32 s61, s60, s61                                    // 000000004D78: 923D3D3C
	s_add_u32 s82, s82, s61                                    // 000000004D7C: 80523D52
	v_mul_lo_u32 v6, v5, s82                                   // 000000004D80: D2850006 0000A505
	v_readlane_b32 s82, v3, 5                                  // 000000004D88: D2890052 00010B03
	s_lshr_b32 s61, s82, 24                                    // 000000004D90: 8F3D9852
	s_and_b32 s82, s82, 0xffffff                               // 000000004D94: 8652FF52 00FFFFFF
	s_mul_i32 s82, s82, s71                                    // 000000004D9C: 92524752
	s_mul_i32 s61, s60, s61                                    // 000000004DA0: 923D3D3C
	s_add_u32 s82, s82, s61                                    // 000000004DA4: 80523D52
	v_mul_lo_u32 v7, v4, s82                                   // 000000004DA8: D2850007 0000A504
	v_add_u32_e32 v38, v6, v7                                  // 000000004DB0: 684C0F06
	v_readlane_b32 s82, v3, 6                                  // 000000004DB4: D2890052 00010D03
	s_lshr_b32 s61, s82, 24                                    // 000000004DBC: 8F3D9852
	s_and_b32 s82, s82, 0xffffff                               // 000000004DC0: 8652FF52 00FFFFFF
	s_mul_i32 s82, s82, s71                                    // 000000004DC8: 92524752
	s_mul_i32 s61, s60, s61                                    // 000000004DCC: 923D3D3C
	s_add_u32 s82, s82, s61                                    // 000000004DD0: 80523D52
	v_mul_lo_u32 v6, v5, s82                                   // 000000004DD4: D2850006 0000A505
	v_readlane_b32 s82, v3, 7                                  // 000000004DDC: D2890052 00010F03
	s_lshr_b32 s61, s82, 24                                    // 000000004DE4: 8F3D9852
	s_and_b32 s82, s82, 0xffffff                               // 000000004DE8: 8652FF52 00FFFFFF
	s_mul_i32 s82, s82, s71                                    // 000000004DF0: 92524752
	s_mul_i32 s61, s60, s61                                    // 000000004DF4: 923D3D3C
	s_add_u32 s82, s82, s61                                    // 000000004DF8: 80523D52
	v_mul_lo_u32 v7, v4, s82                                   // 000000004DFC: D2850007 0000A504
	v_add_u32_e32 v39, v6, v7                                  // 000000004E04: 684E0F06
	v_and_b32_e32 v4, 31, v0                                   // 000000004E08: 2608009F
	v_lshrrev_b32_e32 v4, 1, v4                                // 000000004E0C: 20080881
	s_cmp_eq_u32 s88, 0                                        // 000000004E10: BF068058
	s_cselect_b32 s61, 2, 4                                    // 000000004E14: 853D8482
	v_mul_lo_u32 v4, v4, s61                                   // 000000004E18: D2850004 00007B04
	v_and_b32_e64 v5, v0, 1                                    // 000000004E20: D1130005 00010300
	v_add_u32_e32 v4, v4, v5                                   // 000000004E28: 68080B04
	v_lshlrev_b32_e32 v4, 2, v4                                // 000000004E2C: 24080882
	v_add_u32_e32 v36, v36, v4                                 // 000000004E30: 68480924
	v_add_u32_e32 v37, v37, v4                                 // 000000004E34: 684A0925
	v_add_u32_e32 v38, v38, v4                                 // 000000004E38: 684C0926
	v_add_u32_e32 v39, v39, v4                                 // 000000004E3C: 684E0927
	s_waitcnt lgkmcnt(0)                                       // 000000004E40: BF8CC07F
	s_barrier                                                  // 000000004E44: BF8A0000
	ds_read_b32 v44, v21                                       // 000000004E48: D86C0000 2C000015
	ds_read_b32 v45, v21 offset:64                             // 000000004E50: D86C0040 2D000015
	ds_read_b32 v48, v21 offset:2176                           // 000000004E58: D86C0880 30000015
	ds_read_b32 v49, v21 offset:2240                           // 000000004E60: D86C08C0 31000015
	ds_read_b32 v52, v21 offset:4352                           // 000000004E68: D86C1100 34000015
	ds_read_b32 v53, v21 offset:4416                           // 000000004E70: D86C1140 35000015
	ds_read_b32 v56, v21 offset:6528                           // 000000004E78: D86C1980 38000015
	ds_read_b32 v57, v21 offset:6592                           // 000000004E80: D86C19C0 39000015
	ds_read_b32 v60, v21 offset:8704                           // 000000004E88: D86C2200 3C000015
	ds_read_b32 v61, v21 offset:8768                           // 000000004E90: D86C2240 3D000015
	ds_read_b32 v64, v21 offset:10880                          // 000000004E98: D86C2A80 40000015
	ds_read_b32 v65, v21 offset:10944                          // 000000004EA0: D86C2AC0 41000015
	ds_read_b32 v68, v21 offset:13056                          // 000000004EA8: D86C3300 44000015
	ds_read_b32 v69, v21 offset:13120                          // 000000004EB0: D86C3340 45000015
	ds_read_b32 v72, v21 offset:15232                          // 000000004EB8: D86C3B80 48000015
	ds_read_b32 v73, v21 offset:15296                          // 000000004EC0: D86C3BC0 49000015
	s_waitcnt lgkmcnt(0)                                       // 000000004EC8: BF8CC07F
	s_mov_b32 s36, -1                                          // 000000004ECC: BEA400C1
	s_mov_b32 s37, -1                                          // 000000004ED0: BEA500C1
	v_mov_b32_e32 v7, 0                                        // 000000004ED4: 7E0E0280
	s_mov_b64 exec, s[36:37]                                   // 000000004ED8: BEFE0124
	v_mov_b32_e32 v6, v36                                      // 000000004EDC: 7E0C0324
	s_mov_b64 s[60:61], 0                                      // 000000004EE0: BEBC0180
	v_readlane_b32 s82, v3, 0                                  // 000000004EE4: D2890052 00010103
	s_and_b32 s82, s82, 0xffffff                               // 000000004EEC: 8652FF52 00FFFFFF
	s_cmp_lt_u32 s82, s66                                      // 000000004EF4: BF0A4252
	s_cselect_b32 s20, s36, s60                                // 000000004EF8: 85143C24
	v_readlane_b32 s82, v3, 1                                  // 000000004EFC: D2890052 00010303
	s_and_b32 s82, s82, 0xffffff                               // 000000004F04: 8652FF52 00FFFFFF
	s_cmp_lt_u32 s82, s66                                      // 000000004F0C: BF0A4252
	s_cselect_b32 s21, s36, s60                                // 000000004F10: 85153C24
	s_mov_b64 exec, s[20:21]                                   // 000000004F14: BEFE0114
	global_atomic_add_f32 v6, v44, s[8:9]                      // 000000004F18: DD348000 00082C06
	global_atomic_add_f32 v6, v48, s[8:9] offset:256           // 000000004F20: DD348100 00083006
	global_atomic_add_f32 v6, v52, s[8:9] offset:512           // 000000004F28: DD348200 00083406
	global_atomic_add_f32 v6, v56, s[8:9] offset:768           // 000000004F30: DD348300 00083806
	s_mov_b64 exec, s[36:37]                                   // 000000004F38: BEFE0124
	v_mov_b32_e32 v6, v37                                      // 000000004F3C: 7E0C0325
	s_mov_b64 s[60:61], 0                                      // 000000004F40: BEBC0180
	v_readlane_b32 s82, v3, 2                                  // 000000004F44: D2890052 00010503
	s_and_b32 s82, s82, 0xffffff                               // 000000004F4C: 8652FF52 00FFFFFF
	s_cmp_lt_u32 s82, s66                                      // 000000004F54: BF0A4252
	s_cselect_b32 s20, s36, s60                                // 000000004F58: 85143C24
	v_readlane_b32 s82, v3, 3                                  // 000000004F5C: D2890052 00010703
	s_and_b32 s82, s82, 0xffffff                               // 000000004F64: 8652FF52 00FFFFFF
	s_cmp_lt_u32 s82, s66                                      // 000000004F6C: BF0A4252
	s_cselect_b32 s21, s36, s60                                // 000000004F70: 85153C24
	s_mov_b64 exec, s[20:21]                                   // 000000004F74: BEFE0114
	global_atomic_add_f32 v6, v45, s[8:9]                      // 000000004F78: DD348000 00082D06
	global_atomic_add_f32 v6, v49, s[8:9] offset:256           // 000000004F80: DD348100 00083106
	global_atomic_add_f32 v6, v53, s[8:9] offset:512           // 000000004F88: DD348200 00083506
	global_atomic_add_f32 v6, v57, s[8:9] offset:768           // 000000004F90: DD348300 00083906
	s_mov_b64 exec, s[36:37]                                   // 000000004F98: BEFE0124
	v_mov_b32_e32 v6, v38                                      // 000000004F9C: 7E0C0326
	s_mov_b64 s[60:61], 0                                      // 000000004FA0: BEBC0180
	v_readlane_b32 s82, v3, 4                                  // 000000004FA4: D2890052 00010903
	s_and_b32 s82, s82, 0xffffff                               // 000000004FAC: 8652FF52 00FFFFFF
	s_cmp_lt_u32 s82, s66                                      // 000000004FB4: BF0A4252
	s_cselect_b32 s20, s36, s60                                // 000000004FB8: 85143C24
	v_readlane_b32 s82, v3, 5                                  // 000000004FBC: D2890052 00010B03
	s_and_b32 s82, s82, 0xffffff                               // 000000004FC4: 8652FF52 00FFFFFF
	s_cmp_lt_u32 s82, s66                                      // 000000004FCC: BF0A4252
	s_cselect_b32 s21, s36, s60                                // 000000004FD0: 85153C24
	s_mov_b64 exec, s[20:21]                                   // 000000004FD4: BEFE0114
	global_atomic_add_f32 v6, v60, s[8:9]                      // 000000004FD8: DD348000 00083C06
	global_atomic_add_f32 v6, v64, s[8:9] offset:256           // 000000004FE0: DD348100 00084006
	global_atomic_add_f32 v6, v68, s[8:9] offset:512           // 000000004FE8: DD348200 00084406
	global_atomic_add_f32 v6, v72, s[8:9] offset:768           // 000000004FF0: DD348300 00084806
	s_mov_b64 exec, s[36:37]                                   // 000000004FF8: BEFE0124
	v_mov_b32_e32 v6, v39                                      // 000000004FFC: 7E0C0327
	s_mov_b64 s[60:61], 0                                      // 000000005000: BEBC0180
	v_readlane_b32 s82, v3, 6                                  // 000000005004: D2890052 00010D03
	s_and_b32 s82, s82, 0xffffff                               // 00000000500C: 8652FF52 00FFFFFF
	s_cmp_lt_u32 s82, s66                                      // 000000005014: BF0A4252
	s_cselect_b32 s20, s36, s60                                // 000000005018: 85143C24
	v_readlane_b32 s82, v3, 7                                  // 00000000501C: D2890052 00010F03
	s_and_b32 s82, s82, 0xffffff                               // 000000005024: 8652FF52 00FFFFFF
	s_cmp_lt_u32 s82, s66                                      // 00000000502C: BF0A4252
	s_cselect_b32 s21, s36, s60                                // 000000005030: 85153C24
	s_mov_b64 exec, s[20:21]                                   // 000000005034: BEFE0114
	global_atomic_add_f32 v6, v61, s[8:9]                      // 000000005038: DD348000 00083D06
	global_atomic_add_f32 v6, v65, s[8:9] offset:256           // 000000005040: DD348100 00084106
	global_atomic_add_f32 v6, v69, s[8:9] offset:512           // 000000005048: DD348200 00084506
	global_atomic_add_f32 v6, v73, s[8:9] offset:768           // 000000005050: DD348300 00084906
	s_mov_b64 exec, s[36:37]                                   // 000000005058: BEFE0124
	ds_write_b64 v20, v[46:47]                                 // 00000000505C: D89A0000 00002E14
	ds_write_b64 v20, v[50:51] offset:8704                     // 000000005064: D89A2200 00003214
	ds_write_b64 v20, v[54:55] offset:2176                     // 00000000506C: D89A0880 00003614
	ds_write_b64 v20, v[58:59] offset:10880                    // 000000005074: D89A2A80 00003A14
	ds_write_b64 v20, v[62:63] offset:4352                     // 00000000507C: D89A1100 00003E14
	ds_write_b64 v20, v[66:67] offset:13056                    // 000000005084: D89A3300 00004214
	ds_write_b64 v20, v[70:71] offset:6528                     // 00000000508C: D89A1980 00004614
	ds_write_b64 v20, v[74:75] offset:15232                    // 000000005094: D89A3B80 00004A14
	s_waitcnt lgkmcnt(0)                                       // 00000000509C: BF8CC07F
	s_barrier                                                  // 0000000050A0: BF8A0000
	ds_read_b32 v46, v21                                       // 0000000050A4: D86C0000 2E000015
	ds_read_b32 v47, v21 offset:64                             // 0000000050AC: D86C0040 2F000015
	ds_read_b32 v50, v21 offset:2176                           // 0000000050B4: D86C0880 32000015
	ds_read_b32 v51, v21 offset:2240                           // 0000000050BC: D86C08C0 33000015
	ds_read_b32 v54, v21 offset:4352                           // 0000000050C4: D86C1100 36000015
	ds_read_b32 v55, v21 offset:4416                           // 0000000050CC: D86C1140 37000015
	ds_read_b32 v58, v21 offset:6528                           // 0000000050D4: D86C1980 3A000015
	ds_read_b32 v59, v21 offset:6592                           // 0000000050DC: D86C19C0 3B000015
	ds_read_b32 v62, v21 offset:8704                           // 0000000050E4: D86C2200 3E000015
	ds_read_b32 v63, v21 offset:8768                           // 0000000050EC: D86C2240 3F000015
	ds_read_b32 v66, v21 offset:10880                          // 0000000050F4: D86C2A80 42000015
	ds_read_b32 v67, v21 offset:10944                          // 0000000050FC: D86C2AC0 43000015
	ds_read_b32 v70, v21 offset:13056                          // 000000005104: D86C3300 46000015
	ds_read_b32 v71, v21 offset:13120                          // 00000000510C: D86C3340 47000015
	ds_read_b32 v74, v21 offset:15232                          // 000000005114: D86C3B80 4A000015
	ds_read_b32 v75, v21 offset:15296                          // 00000000511C: D86C3BC0 4B000015
	s_waitcnt lgkmcnt(0)                                       // 000000005124: BF8CC07F
	v_mov_b32_e32 v7, 0                                        // 000000005128: 7E0E0280
	s_mov_b64 exec, s[36:37]                                   // 00000000512C: BEFE0124
	v_mov_b32_e32 v6, v36                                      // 000000005130: 7E0C0324
	s_mov_b64 s[60:61], 0                                      // 000000005134: BEBC0180
	v_readlane_b32 s82, v3, 0                                  // 000000005138: D2890052 00010103
	s_and_b32 s82, s82, 0xffffff                               // 000000005140: 8652FF52 00FFFFFF
	s_cmp_lt_u32 s82, s66                                      // 000000005148: BF0A4252
	s_cselect_b32 s20, s36, s60                                // 00000000514C: 85143C24
	v_readlane_b32 s82, v3, 1                                  // 000000005150: D2890052 00010303
	s_and_b32 s82, s82, 0xffffff                               // 000000005158: 8652FF52 00FFFFFF
	s_cmp_lt_u32 s82, s66                                      // 000000005160: BF0A4252
	s_cselect_b32 s21, s36, s60                                // 000000005164: 85153C24
	s_mov_b64 exec, s[20:21]                                   // 000000005168: BEFE0114
	global_atomic_add_f32 v6, v46, s[8:9] offset:8             // 00000000516C: DD348008 00082E06
	global_atomic_add_f32 v6, v50, s[8:9] offset:264           // 000000005174: DD348108 00083206
	global_atomic_add_f32 v6, v54, s[8:9] offset:520           // 00000000517C: DD348208 00083606
	global_atomic_add_f32 v6, v58, s[8:9] offset:776           // 000000005184: DD348308 00083A06
	s_mov_b64 exec, s[36:37]                                   // 00000000518C: BEFE0124
	v_mov_b32_e32 v6, v37                                      // 000000005190: 7E0C0325
	s_mov_b64 s[60:61], 0                                      // 000000005194: BEBC0180
	v_readlane_b32 s82, v3, 2                                  // 000000005198: D2890052 00010503
	s_and_b32 s82, s82, 0xffffff                               // 0000000051A0: 8652FF52 00FFFFFF
	s_cmp_lt_u32 s82, s66                                      // 0000000051A8: BF0A4252
	s_cselect_b32 s20, s36, s60                                // 0000000051AC: 85143C24
	v_readlane_b32 s82, v3, 3                                  // 0000000051B0: D2890052 00010703
	s_and_b32 s82, s82, 0xffffff                               // 0000000051B8: 8652FF52 00FFFFFF
	s_cmp_lt_u32 s82, s66                                      // 0000000051C0: BF0A4252
	s_cselect_b32 s21, s36, s60                                // 0000000051C4: 85153C24
	s_mov_b64 exec, s[20:21]                                   // 0000000051C8: BEFE0114
	global_atomic_add_f32 v6, v47, s[8:9] offset:8             // 0000000051CC: DD348008 00082F06
	global_atomic_add_f32 v6, v51, s[8:9] offset:264           // 0000000051D4: DD348108 00083306
	global_atomic_add_f32 v6, v55, s[8:9] offset:520           // 0000000051DC: DD348208 00083706
	global_atomic_add_f32 v6, v59, s[8:9] offset:776           // 0000000051E4: DD348308 00083B06
	s_mov_b64 exec, s[36:37]                                   // 0000000051EC: BEFE0124
	v_mov_b32_e32 v6, v38                                      // 0000000051F0: 7E0C0326
	s_mov_b64 s[60:61], 0                                      // 0000000051F4: BEBC0180
	v_readlane_b32 s82, v3, 4                                  // 0000000051F8: D2890052 00010903
	s_and_b32 s82, s82, 0xffffff                               // 000000005200: 8652FF52 00FFFFFF
	s_cmp_lt_u32 s82, s66                                      // 000000005208: BF0A4252
	s_cselect_b32 s20, s36, s60                                // 00000000520C: 85143C24
	v_readlane_b32 s82, v3, 5                                  // 000000005210: D2890052 00010B03
	s_and_b32 s82, s82, 0xffffff                               // 000000005218: 8652FF52 00FFFFFF
	s_cmp_lt_u32 s82, s66                                      // 000000005220: BF0A4252
	s_cselect_b32 s21, s36, s60                                // 000000005224: 85153C24
	s_mov_b64 exec, s[20:21]                                   // 000000005228: BEFE0114
	global_atomic_add_f32 v6, v62, s[8:9] offset:8             // 00000000522C: DD348008 00083E06
	global_atomic_add_f32 v6, v66, s[8:9] offset:264           // 000000005234: DD348108 00084206
	global_atomic_add_f32 v6, v70, s[8:9] offset:520           // 00000000523C: DD348208 00084606
	global_atomic_add_f32 v6, v74, s[8:9] offset:776           // 000000005244: DD348308 00084A06
	s_mov_b64 exec, s[36:37]                                   // 00000000524C: BEFE0124
	v_mov_b32_e32 v6, v39                                      // 000000005250: 7E0C0327
	s_mov_b64 s[60:61], 0                                      // 000000005254: BEBC0180
	v_readlane_b32 s82, v3, 6                                  // 000000005258: D2890052 00010D03
	s_and_b32 s82, s82, 0xffffff                               // 000000005260: 8652FF52 00FFFFFF
	s_cmp_lt_u32 s82, s66                                      // 000000005268: BF0A4252
	s_cselect_b32 s20, s36, s60                                // 00000000526C: 85143C24
	v_readlane_b32 s82, v3, 7                                  // 000000005270: D2890052 00010F03
	s_and_b32 s82, s82, 0xffffff                               // 000000005278: 8652FF52 00FFFFFF
	s_cmp_lt_u32 s82, s66                                      // 000000005280: BF0A4252
	s_cselect_b32 s21, s36, s60                                // 000000005284: 85153C24
	s_mov_b64 exec, s[20:21]                                   // 000000005288: BEFE0114
	global_atomic_add_f32 v6, v63, s[8:9] offset:8             // 00000000528C: DD348008 00083F06
	global_atomic_add_f32 v6, v67, s[8:9] offset:264           // 000000005294: DD348108 00084306
	global_atomic_add_f32 v6, v71, s[8:9] offset:520           // 00000000529C: DD348208 00084706
	global_atomic_add_f32 v6, v75, s[8:9] offset:776           // 0000000052A4: DD348308 00084B06
	s_mov_b64 exec, s[36:37]                                   // 0000000052AC: BEFE0124
	ds_write_b64 v20, v[76:77]                                 // 0000000052B0: D89A0000 00004C14
	ds_write_b64 v20, v[80:81] offset:8704                     // 0000000052B8: D89A2200 00005014
	ds_write_b64 v20, v[84:85] offset:2176                     // 0000000052C0: D89A0880 00005414
	ds_write_b64 v20, v[88:89] offset:10880                    // 0000000052C8: D89A2A80 00005814
	ds_write_b64 v20, v[92:93] offset:4352                     // 0000000052D0: D89A1100 00005C14
	ds_write_b64 v20, v[96:97] offset:13056                    // 0000000052D8: D89A3300 00006014
	ds_write_b64 v20, v[100:101] offset:6528                   // 0000000052E0: D89A1980 00006414
	ds_write_b64 v20, v[104:105] offset:15232                  // 0000000052E8: D89A3B80 00006814
	s_waitcnt lgkmcnt(0)                                       // 0000000052F0: BF8CC07F
	s_barrier                                                  // 0000000052F4: BF8A0000
	ds_read_b32 v76, v21                                       // 0000000052F8: D86C0000 4C000015
	ds_read_b32 v77, v21 offset:64                             // 000000005300: D86C0040 4D000015
	ds_read_b32 v80, v21 offset:2176                           // 000000005308: D86C0880 50000015
	ds_read_b32 v81, v21 offset:2240                           // 000000005310: D86C08C0 51000015
	ds_read_b32 v84, v21 offset:4352                           // 000000005318: D86C1100 54000015
	ds_read_b32 v85, v21 offset:4416                           // 000000005320: D86C1140 55000015
	ds_read_b32 v88, v21 offset:6528                           // 000000005328: D86C1980 58000015
	ds_read_b32 v89, v21 offset:6592                           // 000000005330: D86C19C0 59000015
	ds_read_b32 v92, v21 offset:8704                           // 000000005338: D86C2200 5C000015
	ds_read_b32 v93, v21 offset:8768                           // 000000005340: D86C2240 5D000015
	ds_read_b32 v96, v21 offset:10880                          // 000000005348: D86C2A80 60000015
	ds_read_b32 v97, v21 offset:10944                          // 000000005350: D86C2AC0 61000015
	ds_read_b32 v100, v21 offset:13056                         // 000000005358: D86C3300 64000015
	ds_read_b32 v101, v21 offset:13120                         // 000000005360: D86C3340 65000015
	ds_read_b32 v104, v21 offset:15232                         // 000000005368: D86C3B80 68000015
	ds_read_b32 v105, v21 offset:15296                         // 000000005370: D86C3BC0 69000015
	s_mul_i32 s60, s65, 4                                      // 000000005378: 923C8441
	s_add_u32 s8, s60, s8                                      // 00000000537C: 8008083C
	s_addc_u32 s9, 0, s9                                       // 000000005380: 82090980
	s_waitcnt lgkmcnt(0)                                       // 000000005384: BF8CC07F
	v_mov_b32_e32 v7, 0                                        // 000000005388: 7E0E0280
	s_mov_b64 exec, s[36:37]                                   // 00000000538C: BEFE0124
	v_mov_b32_e32 v6, v36                                      // 000000005390: 7E0C0324
	s_mov_b64 s[60:61], 0                                      // 000000005394: BEBC0180
	v_readlane_b32 s82, v3, 0                                  // 000000005398: D2890052 00010103
	s_and_b32 s82, s82, 0xffffff                               // 0000000053A0: 8652FF52 00FFFFFF
	s_cmp_lt_u32 s82, s66                                      // 0000000053A8: BF0A4252
	s_cselect_b32 s20, s36, s60                                // 0000000053AC: 85143C24
	v_readlane_b32 s82, v3, 1                                  // 0000000053B0: D2890052 00010303
	s_and_b32 s82, s82, 0xffffff                               // 0000000053B8: 8652FF52 00FFFFFF
	s_cmp_lt_u32 s82, s66                                      // 0000000053C0: BF0A4252
	s_cselect_b32 s21, s36, s60                                // 0000000053C4: 85153C24
	s_mov_b64 exec, s[20:21]                                   // 0000000053C8: BEFE0114
	global_atomic_add_f32 v6, v76, s[8:9]                      // 0000000053CC: DD348000 00084C06
	global_atomic_add_f32 v6, v80, s[8:9] offset:256           // 0000000053D4: DD348100 00085006
	global_atomic_add_f32 v6, v84, s[8:9] offset:512           // 0000000053DC: DD348200 00085406
	global_atomic_add_f32 v6, v88, s[8:9] offset:768           // 0000000053E4: DD348300 00085806
	s_mov_b64 exec, s[36:37]                                   // 0000000053EC: BEFE0124
	v_mov_b32_e32 v6, v37                                      // 0000000053F0: 7E0C0325
	s_mov_b64 s[60:61], 0                                      // 0000000053F4: BEBC0180
	v_readlane_b32 s82, v3, 2                                  // 0000000053F8: D2890052 00010503
	s_and_b32 s82, s82, 0xffffff                               // 000000005400: 8652FF52 00FFFFFF
	s_cmp_lt_u32 s82, s66                                      // 000000005408: BF0A4252
	s_cselect_b32 s20, s36, s60                                // 00000000540C: 85143C24
	v_readlane_b32 s82, v3, 3                                  // 000000005410: D2890052 00010703
	s_and_b32 s82, s82, 0xffffff                               // 000000005418: 8652FF52 00FFFFFF
	s_cmp_lt_u32 s82, s66                                      // 000000005420: BF0A4252
	s_cselect_b32 s21, s36, s60                                // 000000005424: 85153C24
	s_mov_b64 exec, s[20:21]                                   // 000000005428: BEFE0114
	global_atomic_add_f32 v6, v77, s[8:9]                      // 00000000542C: DD348000 00084D06
	global_atomic_add_f32 v6, v81, s[8:9] offset:256           // 000000005434: DD348100 00085106
	global_atomic_add_f32 v6, v85, s[8:9] offset:512           // 00000000543C: DD348200 00085506
	global_atomic_add_f32 v6, v89, s[8:9] offset:768           // 000000005444: DD348300 00085906
	s_mov_b64 exec, s[36:37]                                   // 00000000544C: BEFE0124
	v_mov_b32_e32 v6, v38                                      // 000000005450: 7E0C0326
	s_mov_b64 s[60:61], 0                                      // 000000005454: BEBC0180
	v_readlane_b32 s82, v3, 4                                  // 000000005458: D2890052 00010903
	s_and_b32 s82, s82, 0xffffff                               // 000000005460: 8652FF52 00FFFFFF
	s_cmp_lt_u32 s82, s66                                      // 000000005468: BF0A4252
	s_cselect_b32 s20, s36, s60                                // 00000000546C: 85143C24
	v_readlane_b32 s82, v3, 5                                  // 000000005470: D2890052 00010B03
	s_and_b32 s82, s82, 0xffffff                               // 000000005478: 8652FF52 00FFFFFF
	s_cmp_lt_u32 s82, s66                                      // 000000005480: BF0A4252
	s_cselect_b32 s21, s36, s60                                // 000000005484: 85153C24
	s_mov_b64 exec, s[20:21]                                   // 000000005488: BEFE0114
	global_atomic_add_f32 v6, v92, s[8:9]                      // 00000000548C: DD348000 00085C06
	global_atomic_add_f32 v6, v96, s[8:9] offset:256           // 000000005494: DD348100 00086006
	global_atomic_add_f32 v6, v100, s[8:9] offset:512          // 00000000549C: DD348200 00086406
	global_atomic_add_f32 v6, v104, s[8:9] offset:768          // 0000000054A4: DD348300 00086806
	s_mov_b64 exec, s[36:37]                                   // 0000000054AC: BEFE0124
	v_mov_b32_e32 v6, v39                                      // 0000000054B0: 7E0C0327
	s_mov_b64 s[60:61], 0                                      // 0000000054B4: BEBC0180
	v_readlane_b32 s82, v3, 6                                  // 0000000054B8: D2890052 00010D03
	s_and_b32 s82, s82, 0xffffff                               // 0000000054C0: 8652FF52 00FFFFFF
	s_cmp_lt_u32 s82, s66                                      // 0000000054C8: BF0A4252
	s_cselect_b32 s20, s36, s60                                // 0000000054CC: 85143C24
	v_readlane_b32 s82, v3, 7                                  // 0000000054D0: D2890052 00010F03
	s_and_b32 s82, s82, 0xffffff                               // 0000000054D8: 8652FF52 00FFFFFF
	s_cmp_lt_u32 s82, s66                                      // 0000000054E0: BF0A4252
	s_cselect_b32 s21, s36, s60                                // 0000000054E4: 85153C24
	s_mov_b64 exec, s[20:21]                                   // 0000000054E8: BEFE0114
	global_atomic_add_f32 v6, v93, s[8:9]                      // 0000000054EC: DD348000 00085D06
	global_atomic_add_f32 v6, v97, s[8:9] offset:256           // 0000000054F4: DD348100 00086106
	global_atomic_add_f32 v6, v101, s[8:9] offset:512          // 0000000054FC: DD348200 00086506
	global_atomic_add_f32 v6, v105, s[8:9] offset:768          // 000000005504: DD348300 00086906
	s_mov_b64 exec, s[36:37]                                   // 00000000550C: BEFE0124
	ds_write_b64 v20, v[78:79]                                 // 000000005510: D89A0000 00004E14
	ds_write_b64 v20, v[82:83] offset:8704                     // 000000005518: D89A2200 00005214
	ds_write_b64 v20, v[86:87] offset:2176                     // 000000005520: D89A0880 00005614
	ds_write_b64 v20, v[90:91] offset:10880                    // 000000005528: D89A2A80 00005A14
	ds_write_b64 v20, v[94:95] offset:4352                     // 000000005530: D89A1100 00005E14
	ds_write_b64 v20, v[98:99] offset:13056                    // 000000005538: D89A3300 00006214
	ds_write_b64 v20, v[102:103] offset:6528                   // 000000005540: D89A1980 00006614
	ds_write_b64 v20, v[106:107] offset:15232                  // 000000005548: D89A3B80 00006A14
	s_waitcnt lgkmcnt(0)                                       // 000000005550: BF8CC07F
	s_barrier                                                  // 000000005554: BF8A0000
	ds_read_b32 v78, v21                                       // 000000005558: D86C0000 4E000015
	ds_read_b32 v79, v21 offset:64                             // 000000005560: D86C0040 4F000015
	ds_read_b32 v82, v21 offset:2176                           // 000000005568: D86C0880 52000015
	ds_read_b32 v83, v21 offset:2240                           // 000000005570: D86C08C0 53000015
	ds_read_b32 v86, v21 offset:4352                           // 000000005578: D86C1100 56000015
	ds_read_b32 v87, v21 offset:4416                           // 000000005580: D86C1140 57000015
	ds_read_b32 v90, v21 offset:6528                           // 000000005588: D86C1980 5A000015
	ds_read_b32 v91, v21 offset:6592                           // 000000005590: D86C19C0 5B000015
	ds_read_b32 v94, v21 offset:8704                           // 000000005598: D86C2200 5E000015
	ds_read_b32 v95, v21 offset:8768                           // 0000000055A0: D86C2240 5F000015
	ds_read_b32 v98, v21 offset:10880                          // 0000000055A8: D86C2A80 62000015
	ds_read_b32 v99, v21 offset:10944                          // 0000000055B0: D86C2AC0 63000015
	ds_read_b32 v102, v21 offset:13056                         // 0000000055B8: D86C3300 66000015
	ds_read_b32 v103, v21 offset:13120                         // 0000000055C0: D86C3340 67000015
	ds_read_b32 v106, v21 offset:15232                         // 0000000055C8: D86C3B80 6A000015
	ds_read_b32 v107, v21 offset:15296                         // 0000000055D0: D86C3BC0 6B000015
	s_waitcnt lgkmcnt(0)                                       // 0000000055D8: BF8CC07F
	v_mov_b32_e32 v7, 0                                        // 0000000055DC: 7E0E0280
	s_mov_b64 exec, s[36:37]                                   // 0000000055E0: BEFE0124
	v_mov_b32_e32 v6, v36                                      // 0000000055E4: 7E0C0324
	s_mov_b64 s[60:61], 0                                      // 0000000055E8: BEBC0180
	v_readlane_b32 s82, v3, 0                                  // 0000000055EC: D2890052 00010103
	s_and_b32 s82, s82, 0xffffff                               // 0000000055F4: 8652FF52 00FFFFFF
	s_cmp_lt_u32 s82, s66                                      // 0000000055FC: BF0A4252
	s_cselect_b32 s20, s36, s60                                // 000000005600: 85143C24
	v_readlane_b32 s82, v3, 1                                  // 000000005604: D2890052 00010303
	s_and_b32 s82, s82, 0xffffff                               // 00000000560C: 8652FF52 00FFFFFF
	s_cmp_lt_u32 s82, s66                                      // 000000005614: BF0A4252
	s_cselect_b32 s21, s36, s60                                // 000000005618: 85153C24
	s_mov_b64 exec, s[20:21]                                   // 00000000561C: BEFE0114
	global_atomic_add_f32 v6, v78, s[8:9] offset:8             // 000000005620: DD348008 00084E06
	global_atomic_add_f32 v6, v82, s[8:9] offset:264           // 000000005628: DD348108 00085206
	global_atomic_add_f32 v6, v86, s[8:9] offset:520           // 000000005630: DD348208 00085606
	global_atomic_add_f32 v6, v90, s[8:9] offset:776           // 000000005638: DD348308 00085A06
	s_mov_b64 exec, s[36:37]                                   // 000000005640: BEFE0124
	v_mov_b32_e32 v6, v37                                      // 000000005644: 7E0C0325
	s_mov_b64 s[60:61], 0                                      // 000000005648: BEBC0180
	v_readlane_b32 s82, v3, 2                                  // 00000000564C: D2890052 00010503
	s_and_b32 s82, s82, 0xffffff                               // 000000005654: 8652FF52 00FFFFFF
	s_cmp_lt_u32 s82, s66                                      // 00000000565C: BF0A4252
	s_cselect_b32 s20, s36, s60                                // 000000005660: 85143C24
	v_readlane_b32 s82, v3, 3                                  // 000000005664: D2890052 00010703
	s_and_b32 s82, s82, 0xffffff                               // 00000000566C: 8652FF52 00FFFFFF
	s_cmp_lt_u32 s82, s66                                      // 000000005674: BF0A4252
	s_cselect_b32 s21, s36, s60                                // 000000005678: 85153C24
	s_mov_b64 exec, s[20:21]                                   // 00000000567C: BEFE0114
	global_atomic_add_f32 v6, v79, s[8:9] offset:8             // 000000005680: DD348008 00084F06
	global_atomic_add_f32 v6, v83, s[8:9] offset:264           // 000000005688: DD348108 00085306
	global_atomic_add_f32 v6, v87, s[8:9] offset:520           // 000000005690: DD348208 00085706
	global_atomic_add_f32 v6, v91, s[8:9] offset:776           // 000000005698: DD348308 00085B06
	s_mov_b64 exec, s[36:37]                                   // 0000000056A0: BEFE0124
	v_mov_b32_e32 v6, v38                                      // 0000000056A4: 7E0C0326
	s_mov_b64 s[60:61], 0                                      // 0000000056A8: BEBC0180
	v_readlane_b32 s82, v3, 4                                  // 0000000056AC: D2890052 00010903
	s_and_b32 s82, s82, 0xffffff                               // 0000000056B4: 8652FF52 00FFFFFF
	s_cmp_lt_u32 s82, s66                                      // 0000000056BC: BF0A4252
	s_cselect_b32 s20, s36, s60                                // 0000000056C0: 85143C24
	v_readlane_b32 s82, v3, 5                                  // 0000000056C4: D2890052 00010B03
	s_and_b32 s82, s82, 0xffffff                               // 0000000056CC: 8652FF52 00FFFFFF
	s_cmp_lt_u32 s82, s66                                      // 0000000056D4: BF0A4252
	s_cselect_b32 s21, s36, s60                                // 0000000056D8: 85153C24
	s_mov_b64 exec, s[20:21]                                   // 0000000056DC: BEFE0114
	global_atomic_add_f32 v6, v94, s[8:9] offset:8             // 0000000056E0: DD348008 00085E06
	global_atomic_add_f32 v6, v98, s[8:9] offset:264           // 0000000056E8: DD348108 00086206
	global_atomic_add_f32 v6, v102, s[8:9] offset:520          // 0000000056F0: DD348208 00086606
	global_atomic_add_f32 v6, v106, s[8:9] offset:776          // 0000000056F8: DD348308 00086A06
	s_mov_b64 exec, s[36:37]                                   // 000000005700: BEFE0124
	v_mov_b32_e32 v6, v39                                      // 000000005704: 7E0C0327
	s_mov_b64 s[60:61], 0                                      // 000000005708: BEBC0180
	v_readlane_b32 s82, v3, 6                                  // 00000000570C: D2890052 00010D03
	s_and_b32 s82, s82, 0xffffff                               // 000000005714: 8652FF52 00FFFFFF
	s_cmp_lt_u32 s82, s66                                      // 00000000571C: BF0A4252
	s_cselect_b32 s20, s36, s60                                // 000000005720: 85143C24
	v_readlane_b32 s82, v3, 7                                  // 000000005724: D2890052 00010F03
	s_and_b32 s82, s82, 0xffffff                               // 00000000572C: 8652FF52 00FFFFFF
	s_cmp_lt_u32 s82, s66                                      // 000000005734: BF0A4252
	s_cselect_b32 s21, s36, s60                                // 000000005738: 85153C24
	s_mov_b64 exec, s[20:21]                                   // 00000000573C: BEFE0114
	global_atomic_add_f32 v6, v95, s[8:9] offset:8             // 000000005740: DD348008 00085F06
	global_atomic_add_f32 v6, v99, s[8:9] offset:264           // 000000005748: DD348108 00086306
	global_atomic_add_f32 v6, v103, s[8:9] offset:520          // 000000005750: DD348208 00086706
	global_atomic_add_f32 v6, v107, s[8:9] offset:776          // 000000005758: DD348308 00086B06
	s_mov_b64 exec, s[36:37]                                   // 000000005760: BEFE0124
	s_branch label_14B5                                        // 000000005764: BF820958

0000000000005768 <label_0B5D>:
	s_waitcnt vmcnt(6) lgkmcnt(0)                              // 000000005768: BF8C0076
	s_barrier                                                  // 00000000576C: BF8A0000
	v_mfma_f32_16x16x32_fp8_fp8 v[44:47], a[32:33], a[0:1], v[44:47]// 000000005770: D3F3002C 1CB20120
	buffer_load_dwordx4 a[64:67], v40, s[84:87], 0 offen       // 000000005778: E05C1000 80954028
	v_mfma_f32_16x16x32_fp8_fp8 v[44:47], a[34:35], a[2:3], v[44:47]// 000000005780: D3F3002C 1CB20522
	v_mfma_f32_16x16x32_fp8_fp8 v[44:47], a[36:37], a[4:5], v[44:47]// 000000005788: D3F3002C 1CB20924
	v_mfma_f32_16x16x32_fp8_fp8 v[44:47], a[38:39], a[6:7], v[44:47]// 000000005790: D3F3002C 1CB20D26
	v_mfma_f32_16x16x32_fp8_fp8 v[48:51], a[32:33], a[8:9], v[48:51]// 000000005798: D3F30030 1CC21120
	buffer_load_dwordx4 a[68:71], v40, s[84:87], 0 offen offset:1024// 0000000057A0: E05C1400 80954428
	v_mfma_f32_16x16x32_fp8_fp8 v[48:51], a[34:35], a[10:11], v[48:51]// 0000000057A8: D3F30030 1CC21522
	v_mfma_f32_16x16x32_fp8_fp8 v[48:51], a[36:37], a[12:13], v[48:51]// 0000000057B0: D3F30030 1CC21924
	v_mfma_f32_16x16x32_fp8_fp8 v[48:51], a[38:39], a[14:15], v[48:51]// 0000000057B8: D3F30030 1CC21D26
	s_waitcnt vmcnt(6)                                         // 0000000057C0: BF8C0F76
	v_mfma_f32_16x16x32_fp8_fp8 v[52:55], a[40:41], a[0:1], v[52:55]// 0000000057C4: D3F30034 1CD20128
	buffer_load_dwordx4 a[72:75], v41, s[84:87], 0 offen       // 0000000057CC: E05C1000 80954829
	v_mfma_f32_16x16x32_fp8_fp8 v[52:55], a[42:43], a[2:3], v[52:55]// 0000000057D4: D3F30034 1CD2052A
	v_mfma_f32_16x16x32_fp8_fp8 v[52:55], a[44:45], a[4:5], v[52:55]// 0000000057DC: D3F30034 1CD2092C
	v_mfma_f32_16x16x32_fp8_fp8 v[52:55], a[46:47], a[6:7], v[52:55]// 0000000057E4: D3F30034 1CD20D2E
	v_mfma_f32_16x16x32_fp8_fp8 v[56:59], a[40:41], a[8:9], v[56:59]// 0000000057EC: D3F30038 1CE21128
	buffer_load_dwordx4 a[76:79], v41, s[84:87], 0 offen offset:1024// 0000000057F4: E05C1400 80954C29
	v_mfma_f32_16x16x32_fp8_fp8 v[56:59], a[42:43], a[10:11], v[56:59]// 0000000057FC: D3F30038 1CE2152A
	v_mfma_f32_16x16x32_fp8_fp8 v[56:59], a[44:45], a[12:13], v[56:59]// 000000005804: D3F30038 1CE2192C
	v_mfma_f32_16x16x32_fp8_fp8 v[56:59], a[46:47], a[14:15], v[56:59]// 00000000580C: D3F30038 1CE21D2E
	s_waitcnt vmcnt(6)                                         // 000000005814: BF8C0F76
	v_mfma_f32_16x16x32_fp8_fp8 v[60:63], a[48:49], a[0:1], v[60:63]// 000000005818: D3F3003C 1CF20130
	buffer_load_dwordx4 a[80:83], v42, s[84:87], 0 offen       // 000000005820: E05C1000 8095502A
	v_mfma_f32_16x16x32_fp8_fp8 v[60:63], a[50:51], a[2:3], v[60:63]// 000000005828: D3F3003C 1CF20532
	v_mfma_f32_16x16x32_fp8_fp8 v[60:63], a[52:53], a[4:5], v[60:63]// 000000005830: D3F3003C 1CF20934
	v_mfma_f32_16x16x32_fp8_fp8 v[60:63], a[54:55], a[6:7], v[60:63]// 000000005838: D3F3003C 1CF20D36
	v_mfma_f32_16x16x32_fp8_fp8 v[64:67], a[48:49], a[8:9], v[64:67]// 000000005840: D3F30040 1D021130
	buffer_load_dwordx4 a[84:87], v42, s[84:87], 0 offen offset:1024// 000000005848: E05C1400 8095542A
	v_mfma_f32_16x16x32_fp8_fp8 v[64:67], a[50:51], a[10:11], v[64:67]// 000000005850: D3F30040 1D021532
	v_mfma_f32_16x16x32_fp8_fp8 v[64:67], a[52:53], a[12:13], v[64:67]// 000000005858: D3F30040 1D021934
	v_mfma_f32_16x16x32_fp8_fp8 v[64:67], a[54:55], a[14:15], v[64:67]// 000000005860: D3F30040 1D021D36
	s_waitcnt vmcnt(6)                                         // 000000005868: BF8C0F76
	v_mfma_f32_16x16x32_fp8_fp8 v[68:71], a[56:57], a[0:1], v[68:71]// 00000000586C: D3F30044 1D120138
	buffer_load_dwordx4 a[88:91], v43, s[84:87], 0 offen       // 000000005874: E05C1000 8095582B
	v_mfma_f32_16x16x32_fp8_fp8 v[68:71], a[58:59], a[2:3], v[68:71]// 00000000587C: D3F30044 1D12053A
	v_mfma_f32_16x16x32_fp8_fp8 v[68:71], a[60:61], a[4:5], v[68:71]// 000000005884: D3F30044 1D12093C
	v_mfma_f32_16x16x32_fp8_fp8 v[68:71], a[62:63], a[6:7], v[68:71]// 00000000588C: D3F30044 1D120D3E
	v_mfma_f32_16x16x32_fp8_fp8 v[72:75], a[56:57], a[8:9], v[72:75]// 000000005894: D3F30048 1D221138
	buffer_load_dwordx4 a[92:95], v43, s[84:87], 0 offen offset:1024// 00000000589C: E05C1400 80955C2B
	buffer_load_dword v36, s[20:23], 0 offen lds               // 0000000058A4: E0511000 80050024
	s_add_u32 m0, 0x100, s48                                   // 0000000058AC: 807C30FF 00000100
	v_mfma_f32_16x16x32_fp8_fp8 v[72:75], a[58:59], a[10:11], v[72:75]// 0000000058B4: D3F30048 1D22153A
	s_add_u32 s60, 0x80, s80                                   // 0000000058BC: 803C50FF 00000080
	s_cmp_lt_u32 s60, s81                                      // 0000000058C4: BF0A513C
	s_cselect_b32 s83, s83, 0                                  // 0000000058C8: 85538053
	v_mfma_f32_16x16x32_fp8_fp8 v[72:75], a[60:61], a[12:13], v[72:75]// 0000000058CC: D3F30048 1D22193C
	buffer_load_dword v37, s[20:23], 0 offen lds               // 0000000058D4: E0511000 80050025
	s_add_u32 m0, 0x200, s48                                   // 0000000058DC: 807C30FF 00000200
	v_mfma_f32_16x16x32_fp8_fp8 v[72:75], a[62:63], a[14:15], v[72:75]// 0000000058E4: D3F30048 1D221D3E
	buffer_load_dword v38, s[20:23], 0 offen lds               // 0000000058EC: E0511000 80050026
	s_add_u32 m0, 0x300, s48                                   // 0000000058F4: 807C30FF 00000300
	buffer_load_dword v39, s[20:23], 0 offen lds               // 0000000058FC: E0511000 80050027
	s_add_u32 m0, 0, s49                                       // 000000005904: 807C3180
	s_waitcnt vmcnt(4)                                         // 000000005908: BF8C0F74
	v_mfma_f32_16x16x32_fp8_fp8 v[76:79], a[64:65], a[0:1], v[76:79]// 00000000590C: D3F3004C 1D320140
	buffer_load_dwordx4 a[32:35], v40, s[24:27], 0 offen       // 000000005914: E05C1000 80862028
	v_mfma_f32_16x16x32_fp8_fp8 v[76:79], a[66:67], a[2:3], v[76:79]// 00000000591C: D3F3004C 1D320542
	v_mfma_f32_16x16x32_fp8_fp8 v[76:79], a[68:69], a[4:5], v[76:79]// 000000005924: D3F3004C 1D320944
	ds_read_b128 a[16:19], v2 offset:4224                      // 00000000592C: DBFE1080 10000002
	ds_read_b128 a[20:23], v2 offset:4288                      // 000000005934: DBFE10C0 14000002
	v_mfma_f32_16x16x32_fp8_fp8 v[76:79], a[70:71], a[6:7], v[76:79]// 00000000593C: D3F3004C 1D320D46
	v_mfma_f32_16x16x32_fp8_fp8 v[84:87], a[72:73], a[0:1], v[84:87]// 000000005944: D3F30054 1D520148
	buffer_load_dwordx4 a[36:39], v40, s[24:27], 0 offen offset:1024// 00000000594C: E05C1400 80862428
	v_mfma_f32_16x16x32_fp8_fp8 v[84:87], a[74:75], a[2:3], v[84:87]// 000000005954: D3F30054 1D52054A
	v_mfma_f32_16x16x32_fp8_fp8 v[84:87], a[76:77], a[4:5], v[84:87]// 00000000595C: D3F30054 1D52094C
	ds_read_b128 a[24:27], v2 offset:4736                      // 000000005964: DBFE1280 18000002
	ds_read_b128 a[28:31], v2 offset:4800                      // 00000000596C: DBFE12C0 1C000002
	v_mfma_f32_16x16x32_fp8_fp8 v[84:87], a[78:79], a[6:7], v[84:87]// 000000005974: D3F30054 1D520D4E
	v_mfma_f32_16x16x32_fp8_fp8 v[92:95], a[80:81], a[0:1], v[92:95]// 00000000597C: D3F3005C 1D720150
	buffer_load_dwordx4 a[40:43], v41, s[24:27], 0 offen       // 000000005984: E05C1000 80862829
	v_mfma_f32_16x16x32_fp8_fp8 v[92:95], a[82:83], a[2:3], v[92:95]// 00000000598C: D3F3005C 1D720552
	v_mfma_f32_16x16x32_fp8_fp8 v[92:95], a[84:85], a[4:5], v[92:95]// 000000005994: D3F3005C 1D720954
	v_mfma_f32_16x16x32_fp8_fp8 v[92:95], a[86:87], a[6:7], v[92:95]// 00000000599C: D3F3005C 1D720D56
	v_mfma_f32_16x16x32_fp8_fp8 v[100:103], a[88:89], a[0:1], v[100:103]// 0000000059A4: D3F30064 1D920158
	buffer_load_dwordx4 a[44:47], v41, s[24:27], 0 offen offset:1024// 0000000059AC: E05C1400 80862C29
	v_mfma_f32_16x16x32_fp8_fp8 v[100:103], a[90:91], a[2:3], v[100:103]// 0000000059B4: D3F30064 1D92055A
	v_mfma_f32_16x16x32_fp8_fp8 v[100:103], a[92:93], a[4:5], v[100:103]// 0000000059BC: D3F30064 1D92095C
	v_mfma_f32_16x16x32_fp8_fp8 v[100:103], a[94:95], a[6:7], v[100:103]// 0000000059C4: D3F30064 1D920D5E
	v_mfma_f32_16x16x32_fp8_fp8 v[80:83], a[64:65], a[8:9], v[80:83]// 0000000059CC: D3F30050 1D421140
	buffer_load_dwordx4 a[48:51], v42, s[24:27], 0 offen       // 0000000059D4: E05C1000 8086302A
	v_mfma_f32_16x16x32_fp8_fp8 v[80:83], a[66:67], a[10:11], v[80:83]// 0000000059DC: D3F30050 1D421542
	v_mfma_f32_16x16x32_fp8_fp8 v[80:83], a[68:69], a[12:13], v[80:83]// 0000000059E4: D3F30050 1D421944
	v_mfma_f32_16x16x32_fp8_fp8 v[80:83], a[70:71], a[14:15], v[80:83]// 0000000059EC: D3F30050 1D421D46
	v_mfma_f32_16x16x32_fp8_fp8 v[88:91], a[72:73], a[8:9], v[88:91]// 0000000059F4: D3F30058 1D621148
	buffer_load_dwordx4 a[52:55], v42, s[24:27], 0 offen offset:1024// 0000000059FC: E05C1400 8086342A
	v_mfma_f32_16x16x32_fp8_fp8 v[88:91], a[74:75], a[10:11], v[88:91]// 000000005A04: D3F30058 1D62154A
	v_mfma_f32_16x16x32_fp8_fp8 v[88:91], a[76:77], a[12:13], v[88:91]// 000000005A0C: D3F30058 1D62194C
	v_mfma_f32_16x16x32_fp8_fp8 v[88:91], a[78:79], a[14:15], v[88:91]// 000000005A14: D3F30058 1D621D4E
	v_mfma_f32_16x16x32_fp8_fp8 v[96:99], a[80:81], a[8:9], v[96:99]// 000000005A1C: D3F30060 1D821150
	buffer_load_dwordx4 a[56:59], v43, s[24:27], 0 offen       // 000000005A24: E05C1000 8086382B
	v_mfma_f32_16x16x32_fp8_fp8 v[96:99], a[82:83], a[10:11], v[96:99]// 000000005A2C: D3F30060 1D821552
	v_mfma_f32_16x16x32_fp8_fp8 v[96:99], a[84:85], a[12:13], v[96:99]// 000000005A34: D3F30060 1D821954
	s_add_u32 s60, 0x180, s80                                  // 000000005A3C: 803C50FF 00000180
	s_cmp_lt_u32 s60, s81                                      // 000000005A44: BF0A513C
	s_cselect_b32 s57, s57, 0                                  // 000000005A48: 85398039
	v_mfma_f32_16x16x32_fp8_fp8 v[96:99], a[86:87], a[14:15], v[96:99]// 000000005A4C: D3F30060 1D821D56
	s_add_u32 s60, 0x100, s80                                  // 000000005A54: 803C50FF 00000100
	s_cmp_lt_u32 s60, s81                                      // 000000005A5C: BF0A513C
	s_cselect_b32 s58, s58, 0                                  // 000000005A60: 853A803A
	v_mfma_f32_16x16x32_fp8_fp8 v[104:107], a[88:89], a[8:9], v[104:107]// 000000005A64: D3F30068 1DA21158
	buffer_load_dwordx4 a[60:63], v43, s[24:27], 0 offen offset:1024// 000000005A6C: E05C1400 80863C2B
	s_add_u32 s24, s58, s24                                    // 000000005A74: 8018183A
	s_addc_u32 s25, 0, s25                                     // 000000005A78: 82191980
	v_mfma_f32_16x16x32_fp8_fp8 v[104:107], a[90:91], a[10:11], v[104:107]// 000000005A7C: D3F30068 1DA2155A
	s_add_u32 s20, s57, s20                                    // 000000005A84: 80141439
	s_addc_u32 s21, 0, s21                                     // 000000005A88: 82151580
	v_mfma_f32_16x16x32_fp8_fp8 v[104:107], a[92:93], a[12:13], v[104:107]// 000000005A8C: D3F30068 1DA2195C
	s_add_u32 s84, s83, s84                                    // 000000005A94: 80545453
	s_addc_u32 s85, 0, s85                                     // 000000005A98: 82555580
	v_mfma_f32_16x16x32_fp8_fp8 v[104:107], a[94:95], a[14:15], v[104:107]// 000000005A9C: D3F30068 1DA21D5E
	s_addk_i32 s80, 0x80                                       // 000000005AA4: B7500080
	s_cmp_lt_i32 s80, s81                                      // 000000005AA8: BF045150
	s_cbranch_scc0 label_0D02                                  // 000000005AAC: BF8400D3
	s_waitcnt vmcnt(6) lgkmcnt(0)                              // 000000005AB0: BF8C0076
	s_barrier                                                  // 000000005AB4: BF8A0000
	v_mfma_f32_16x16x32_fp8_fp8 v[44:47], a[32:33], a[16:17], v[44:47]// 000000005AB8: D3F3002C 1CB22120
	buffer_load_dwordx4 a[64:67], v40, s[84:87], 0 offen       // 000000005AC0: E05C1000 80954028
	v_mfma_f32_16x16x32_fp8_fp8 v[44:47], a[34:35], a[18:19], v[44:47]// 000000005AC8: D3F3002C 1CB22522
	v_mfma_f32_16x16x32_fp8_fp8 v[44:47], a[36:37], a[20:21], v[44:47]// 000000005AD0: D3F3002C 1CB22924
	v_mfma_f32_16x16x32_fp8_fp8 v[44:47], a[38:39], a[22:23], v[44:47]// 000000005AD8: D3F3002C 1CB22D26
	v_mfma_f32_16x16x32_fp8_fp8 v[48:51], a[32:33], a[24:25], v[48:51]// 000000005AE0: D3F30030 1CC23120
	buffer_load_dwordx4 a[68:71], v40, s[84:87], 0 offen offset:1024// 000000005AE8: E05C1400 80954428
	v_mfma_f32_16x16x32_fp8_fp8 v[48:51], a[34:35], a[26:27], v[48:51]// 000000005AF0: D3F30030 1CC23522
	v_mfma_f32_16x16x32_fp8_fp8 v[48:51], a[36:37], a[28:29], v[48:51]// 000000005AF8: D3F30030 1CC23924
	v_mfma_f32_16x16x32_fp8_fp8 v[48:51], a[38:39], a[30:31], v[48:51]// 000000005B00: D3F30030 1CC23D26
	s_waitcnt vmcnt(6)                                         // 000000005B08: BF8C0F76
	v_mfma_f32_16x16x32_fp8_fp8 v[52:55], a[40:41], a[16:17], v[52:55]// 000000005B0C: D3F30034 1CD22128
	buffer_load_dwordx4 a[72:75], v41, s[84:87], 0 offen       // 000000005B14: E05C1000 80954829
	v_mfma_f32_16x16x32_fp8_fp8 v[52:55], a[42:43], a[18:19], v[52:55]// 000000005B1C: D3F30034 1CD2252A
	v_mfma_f32_16x16x32_fp8_fp8 v[52:55], a[44:45], a[20:21], v[52:55]// 000000005B24: D3F30034 1CD2292C
	v_mfma_f32_16x16x32_fp8_fp8 v[52:55], a[46:47], a[22:23], v[52:55]// 000000005B2C: D3F30034 1CD22D2E
	v_mfma_f32_16x16x32_fp8_fp8 v[56:59], a[40:41], a[24:25], v[56:59]// 000000005B34: D3F30038 1CE23128
	buffer_load_dwordx4 a[76:79], v41, s[84:87], 0 offen offset:1024// 000000005B3C: E05C1400 80954C29
	v_mfma_f32_16x16x32_fp8_fp8 v[56:59], a[42:43], a[26:27], v[56:59]// 000000005B44: D3F30038 1CE2352A
	v_mfma_f32_16x16x32_fp8_fp8 v[56:59], a[44:45], a[28:29], v[56:59]// 000000005B4C: D3F30038 1CE2392C
	v_mfma_f32_16x16x32_fp8_fp8 v[56:59], a[46:47], a[30:31], v[56:59]// 000000005B54: D3F30038 1CE23D2E
	s_waitcnt vmcnt(6)                                         // 000000005B5C: BF8C0F76
	v_mfma_f32_16x16x32_fp8_fp8 v[60:63], a[48:49], a[16:17], v[60:63]// 000000005B60: D3F3003C 1CF22130
	buffer_load_dwordx4 a[80:83], v42, s[84:87], 0 offen       // 000000005B68: E05C1000 8095502A
	v_mfma_f32_16x16x32_fp8_fp8 v[60:63], a[50:51], a[18:19], v[60:63]// 000000005B70: D3F3003C 1CF22532
	v_mfma_f32_16x16x32_fp8_fp8 v[60:63], a[52:53], a[20:21], v[60:63]// 000000005B78: D3F3003C 1CF22934
	v_mfma_f32_16x16x32_fp8_fp8 v[60:63], a[54:55], a[22:23], v[60:63]// 000000005B80: D3F3003C 1CF22D36
	v_mfma_f32_16x16x32_fp8_fp8 v[64:67], a[48:49], a[24:25], v[64:67]// 000000005B88: D3F30040 1D023130
	buffer_load_dwordx4 a[84:87], v42, s[84:87], 0 offen offset:1024// 000000005B90: E05C1400 8095542A
	v_mfma_f32_16x16x32_fp8_fp8 v[64:67], a[50:51], a[26:27], v[64:67]// 000000005B98: D3F30040 1D023532
	v_mfma_f32_16x16x32_fp8_fp8 v[64:67], a[52:53], a[28:29], v[64:67]// 000000005BA0: D3F30040 1D023934
	v_mfma_f32_16x16x32_fp8_fp8 v[64:67], a[54:55], a[30:31], v[64:67]// 000000005BA8: D3F30040 1D023D36
	s_waitcnt vmcnt(6)                                         // 000000005BB0: BF8C0F76
	v_mfma_f32_16x16x32_fp8_fp8 v[68:71], a[56:57], a[16:17], v[68:71]// 000000005BB4: D3F30044 1D122138
	buffer_load_dwordx4 a[88:91], v43, s[84:87], 0 offen       // 000000005BBC: E05C1000 8095582B
	v_mfma_f32_16x16x32_fp8_fp8 v[68:71], a[58:59], a[18:19], v[68:71]// 000000005BC4: D3F30044 1D12253A
	v_mfma_f32_16x16x32_fp8_fp8 v[68:71], a[60:61], a[20:21], v[68:71]// 000000005BCC: D3F30044 1D12293C
	v_mfma_f32_16x16x32_fp8_fp8 v[68:71], a[62:63], a[22:23], v[68:71]// 000000005BD4: D3F30044 1D122D3E
	v_mfma_f32_16x16x32_fp8_fp8 v[72:75], a[56:57], a[24:25], v[72:75]// 000000005BDC: D3F30048 1D223138
	buffer_load_dwordx4 a[92:95], v43, s[84:87], 0 offen offset:1024// 000000005BE4: E05C1400 80955C2B
	buffer_load_dword v36, s[20:23], 0 offen lds               // 000000005BEC: E0511000 80050024
	s_add_u32 m0, 0x100, s49                                   // 000000005BF4: 807C31FF 00000100
	v_mfma_f32_16x16x32_fp8_fp8 v[72:75], a[58:59], a[26:27], v[72:75]// 000000005BFC: D3F30048 1D22353A
	s_add_u32 s60, 0x80, s80                                   // 000000005C04: 803C50FF 00000080
	s_cmp_lt_u32 s60, s81                                      // 000000005C0C: BF0A513C
	s_cselect_b32 s83, s83, 0                                  // 000000005C10: 85538053
	v_mfma_f32_16x16x32_fp8_fp8 v[72:75], a[60:61], a[28:29], v[72:75]// 000000005C14: D3F30048 1D22393C
	buffer_load_dword v37, s[20:23], 0 offen lds               // 000000005C1C: E0511000 80050025
	s_add_u32 m0, 0x200, s49                                   // 000000005C24: 807C31FF 00000200
	v_mfma_f32_16x16x32_fp8_fp8 v[72:75], a[62:63], a[30:31], v[72:75]// 000000005C2C: D3F30048 1D223D3E
	buffer_load_dword v38, s[20:23], 0 offen lds               // 000000005C34: E0511000 80050026
	s_add_u32 m0, 0x300, s49                                   // 000000005C3C: 807C31FF 00000300
	buffer_load_dword v39, s[20:23], 0 offen lds               // 000000005C44: E0511000 80050027
	s_add_u32 m0, 0, s48                                       // 000000005C4C: 807C3080
	s_waitcnt vmcnt(4)                                         // 000000005C50: BF8C0F74
	v_mfma_f32_16x16x32_fp8_fp8 v[76:79], a[64:65], a[16:17], v[76:79]// 000000005C54: D3F3004C 1D322140
	buffer_load_dwordx4 a[32:35], v40, s[24:27], 0 offen       // 000000005C5C: E05C1000 80862028
	v_mfma_f32_16x16x32_fp8_fp8 v[76:79], a[66:67], a[18:19], v[76:79]// 000000005C64: D3F3004C 1D322542
	v_mfma_f32_16x16x32_fp8_fp8 v[76:79], a[68:69], a[20:21], v[76:79]// 000000005C6C: D3F3004C 1D322944
	ds_read_b128 a[0:3], v2                                    // 000000005C74: DBFE0000 00000002
	ds_read_b128 a[4:7], v2 offset:64                          // 000000005C7C: DBFE0040 04000002
	v_mfma_f32_16x16x32_fp8_fp8 v[76:79], a[70:71], a[22:23], v[76:79]// 000000005C84: D3F3004C 1D322D46
	v_mfma_f32_16x16x32_fp8_fp8 v[84:87], a[72:73], a[16:17], v[84:87]// 000000005C8C: D3F30054 1D522148
	buffer_load_dwordx4 a[36:39], v40, s[24:27], 0 offen offset:1024// 000000005C94: E05C1400 80862428
	v_mfma_f32_16x16x32_fp8_fp8 v[84:87], a[74:75], a[18:19], v[84:87]// 000000005C9C: D3F30054 1D52254A
	v_mfma_f32_16x16x32_fp8_fp8 v[84:87], a[76:77], a[20:21], v[84:87]// 000000005CA4: D3F30054 1D52294C
	ds_read_b128 a[8:11], v2 offset:512                        // 000000005CAC: DBFE0200 08000002
	ds_read_b128 a[12:15], v2 offset:576                       // 000000005CB4: DBFE0240 0C000002
	v_mfma_f32_16x16x32_fp8_fp8 v[84:87], a[78:79], a[22:23], v[84:87]// 000000005CBC: D3F30054 1D522D4E
	v_mfma_f32_16x16x32_fp8_fp8 v[92:95], a[80:81], a[16:17], v[92:95]// 000000005CC4: D3F3005C 1D722150
	buffer_load_dwordx4 a[40:43], v41, s[24:27], 0 offen       // 000000005CCC: E05C1000 80862829
	v_mfma_f32_16x16x32_fp8_fp8 v[92:95], a[82:83], a[18:19], v[92:95]// 000000005CD4: D3F3005C 1D722552
	v_mfma_f32_16x16x32_fp8_fp8 v[92:95], a[84:85], a[20:21], v[92:95]// 000000005CDC: D3F3005C 1D722954
	v_mfma_f32_16x16x32_fp8_fp8 v[92:95], a[86:87], a[22:23], v[92:95]// 000000005CE4: D3F3005C 1D722D56
	v_mfma_f32_16x16x32_fp8_fp8 v[100:103], a[88:89], a[16:17], v[100:103]// 000000005CEC: D3F30064 1D922158
	buffer_load_dwordx4 a[44:47], v41, s[24:27], 0 offen offset:1024// 000000005CF4: E05C1400 80862C29
	v_mfma_f32_16x16x32_fp8_fp8 v[100:103], a[90:91], a[18:19], v[100:103]// 000000005CFC: D3F30064 1D92255A
	v_mfma_f32_16x16x32_fp8_fp8 v[100:103], a[92:93], a[20:21], v[100:103]// 000000005D04: D3F30064 1D92295C
	v_mfma_f32_16x16x32_fp8_fp8 v[100:103], a[94:95], a[22:23], v[100:103]// 000000005D0C: D3F30064 1D922D5E
	v_mfma_f32_16x16x32_fp8_fp8 v[80:83], a[64:65], a[24:25], v[80:83]// 000000005D14: D3F30050 1D423140
	buffer_load_dwordx4 a[48:51], v42, s[24:27], 0 offen       // 000000005D1C: E05C1000 8086302A
	v_mfma_f32_16x16x32_fp8_fp8 v[80:83], a[66:67], a[26:27], v[80:83]// 000000005D24: D3F30050 1D423542
	v_mfma_f32_16x16x32_fp8_fp8 v[80:83], a[68:69], a[28:29], v[80:83]// 000000005D2C: D3F30050 1D423944
	v_mfma_f32_16x16x32_fp8_fp8 v[80:83], a[70:71], a[30:31], v[80:83]// 000000005D34: D3F30050 1D423D46
	v_mfma_f32_16x16x32_fp8_fp8 v[88:91], a[72:73], a[24:25], v[88:91]// 000000005D3C: D3F30058 1D623148
	buffer_load_dwordx4 a[52:55], v42, s[24:27], 0 offen offset:1024// 000000005D44: E05C1400 8086342A
	v_mfma_f32_16x16x32_fp8_fp8 v[88:91], a[74:75], a[26:27], v[88:91]// 000000005D4C: D3F30058 1D62354A
	v_mfma_f32_16x16x32_fp8_fp8 v[88:91], a[76:77], a[28:29], v[88:91]// 000000005D54: D3F30058 1D62394C
	v_mfma_f32_16x16x32_fp8_fp8 v[88:91], a[78:79], a[30:31], v[88:91]// 000000005D5C: D3F30058 1D623D4E
	v_mfma_f32_16x16x32_fp8_fp8 v[96:99], a[80:81], a[24:25], v[96:99]// 000000005D64: D3F30060 1D823150
	buffer_load_dwordx4 a[56:59], v43, s[24:27], 0 offen       // 000000005D6C: E05C1000 8086382B
	v_mfma_f32_16x16x32_fp8_fp8 v[96:99], a[82:83], a[26:27], v[96:99]// 000000005D74: D3F30060 1D823552
	v_mfma_f32_16x16x32_fp8_fp8 v[96:99], a[84:85], a[28:29], v[96:99]// 000000005D7C: D3F30060 1D823954
	s_add_u32 s60, 0x180, s80                                  // 000000005D84: 803C50FF 00000180
	s_cmp_lt_u32 s60, s81                                      // 000000005D8C: BF0A513C
	s_cselect_b32 s57, s57, 0                                  // 000000005D90: 85398039
	v_mfma_f32_16x16x32_fp8_fp8 v[96:99], a[86:87], a[30:31], v[96:99]// 000000005D94: D3F30060 1D823D56
	s_add_u32 s60, 0x100, s80                                  // 000000005D9C: 803C50FF 00000100
	s_cmp_lt_u32 s60, s81                                      // 000000005DA4: BF0A513C
	s_cselect_b32 s58, s58, 0                                  // 000000005DA8: 853A803A
	v_mfma_f32_16x16x32_fp8_fp8 v[104:107], a[88:89], a[24:25], v[104:107]// 000000005DAC: D3F30068 1DA23158
	buffer_load_dwordx4 a[60:63], v43, s[24:27], 0 offen offset:1024// 000000005DB4: E05C1400 80863C2B
	s_add_u32 s24, s58, s24                                    // 000000005DBC: 8018183A
	s_addc_u32 s25, 0, s25                                     // 000000005DC0: 82191980
	v_mfma_f32_16x16x32_fp8_fp8 v[104:107], a[90:91], a[26:27], v[104:107]// 000000005DC4: D3F30068 1DA2355A
	s_add_u32 s20, s57, s20                                    // 000000005DCC: 80141439
	s_addc_u32 s21, 0, s21                                     // 000000005DD0: 82151580
	v_mfma_f32_16x16x32_fp8_fp8 v[104:107], a[92:93], a[28:29], v[104:107]// 000000005DD4: D3F30068 1DA2395C
	s_add_u32 s84, s83, s84                                    // 000000005DDC: 80545453
	s_addc_u32 s85, 0, s85                                     // 000000005DE0: 82555580
	v_mfma_f32_16x16x32_fp8_fp8 v[104:107], a[94:95], a[30:31], v[104:107]// 000000005DE4: D3F30068 1DA23D5E
	s_addk_i32 s80, 0x80                                       // 000000005DEC: B7500080
	s_cmp_lt_i32 s80, s81                                      // 000000005DF0: BF045150
	s_cbranch_scc0 label_0D02                                  // 000000005DF4: BF840001
	s_branch label_0B5D                                        // 000000005DF8: BF82FE5B

0000000000005dfc <label_0D02>:
	v_mul_f32_dpp v44, v24, v44 row_newbcast:0 row_mask:0xf bank_mask:0xf// 000000005DFC: 0A5858FA FF015018
	v_mul_f32_dpp v45, v24, v45 row_newbcast:1 row_mask:0xf bank_mask:0xf// 000000005E04: 0A5A5AFA FF015118
	v_mul_f32_dpp v46, v24, v46 row_newbcast:2 row_mask:0xf bank_mask:0xf// 000000005E0C: 0A5C5CFA FF015218
	v_mul_f32_dpp v47, v24, v47 row_newbcast:3 row_mask:0xf bank_mask:0xf// 000000005E14: 0A5E5EFA FF015318
	v_mul_f32_dpp v48, v24, v48 row_newbcast:0 row_mask:0xf bank_mask:0xf// 000000005E1C: 0A6060FA FF015018
	v_mul_f32_dpp v49, v24, v49 row_newbcast:1 row_mask:0xf bank_mask:0xf// 000000005E24: 0A6262FA FF015118
	v_mul_f32_dpp v50, v24, v50 row_newbcast:2 row_mask:0xf bank_mask:0xf// 000000005E2C: 0A6464FA FF015218
	v_mul_f32_dpp v51, v24, v51 row_newbcast:3 row_mask:0xf bank_mask:0xf// 000000005E34: 0A6666FA FF015318
	v_mul_f32_dpp v52, v24, v52 row_newbcast:4 row_mask:0xf bank_mask:0xf// 000000005E3C: 0A6868FA FF015418
	v_mul_f32_dpp v53, v24, v53 row_newbcast:5 row_mask:0xf bank_mask:0xf// 000000005E44: 0A6A6AFA FF015518
	v_mul_f32_dpp v54, v24, v54 row_newbcast:6 row_mask:0xf bank_mask:0xf// 000000005E4C: 0A6C6CFA FF015618
	v_mul_f32_dpp v55, v24, v55 row_newbcast:7 row_mask:0xf bank_mask:0xf// 000000005E54: 0A6E6EFA FF015718
	v_mul_f32_dpp v56, v24, v56 row_newbcast:4 row_mask:0xf bank_mask:0xf// 000000005E5C: 0A7070FA FF015418
	v_mul_f32_dpp v57, v24, v57 row_newbcast:5 row_mask:0xf bank_mask:0xf// 000000005E64: 0A7272FA FF015518
	v_mul_f32_dpp v58, v24, v58 row_newbcast:6 row_mask:0xf bank_mask:0xf// 000000005E6C: 0A7474FA FF015618
	v_mul_f32_dpp v59, v24, v59 row_newbcast:7 row_mask:0xf bank_mask:0xf// 000000005E74: 0A7676FA FF015718
	v_mul_f32_dpp v60, v24, v60 row_newbcast:8 row_mask:0xf bank_mask:0xf// 000000005E7C: 0A7878FA FF015818
	v_mul_f32_dpp v61, v24, v61 row_newbcast:9 row_mask:0xf bank_mask:0xf// 000000005E84: 0A7A7AFA FF015918
	v_mul_f32_dpp v62, v24, v62 row_newbcast:10 row_mask:0xf bank_mask:0xf// 000000005E8C: 0A7C7CFA FF015A18
	v_mul_f32_dpp v63, v24, v63 row_newbcast:11 row_mask:0xf bank_mask:0xf// 000000005E94: 0A7E7EFA FF015B18
	v_mul_f32_dpp v64, v24, v64 row_newbcast:8 row_mask:0xf bank_mask:0xf// 000000005E9C: 0A8080FA FF015818
	v_mul_f32_dpp v65, v24, v65 row_newbcast:9 row_mask:0xf bank_mask:0xf// 000000005EA4: 0A8282FA FF015918
	v_mul_f32_dpp v66, v24, v66 row_newbcast:10 row_mask:0xf bank_mask:0xf// 000000005EAC: 0A8484FA FF015A18
	v_mul_f32_dpp v67, v24, v67 row_newbcast:11 row_mask:0xf bank_mask:0xf// 000000005EB4: 0A8686FA FF015B18
	v_mul_f32_dpp v68, v24, v68 row_newbcast:12 row_mask:0xf bank_mask:0xf// 000000005EBC: 0A8888FA FF015C18
	v_mul_f32_dpp v69, v24, v69 row_newbcast:13 row_mask:0xf bank_mask:0xf// 000000005EC4: 0A8A8AFA FF015D18
	v_mul_f32_dpp v70, v24, v70 row_newbcast:14 row_mask:0xf bank_mask:0xf// 000000005ECC: 0A8C8CFA FF015E18
	v_mul_f32_dpp v71, v24, v71 row_newbcast:15 row_mask:0xf bank_mask:0xf// 000000005ED4: 0A8E8EFA FF015F18
	v_mul_f32_dpp v72, v24, v72 row_newbcast:12 row_mask:0xf bank_mask:0xf// 000000005EDC: 0A9090FA FF015C18
	v_mul_f32_dpp v73, v24, v73 row_newbcast:13 row_mask:0xf bank_mask:0xf// 000000005EE4: 0A9292FA FF015D18
	v_mul_f32_dpp v74, v24, v74 row_newbcast:14 row_mask:0xf bank_mask:0xf// 000000005EEC: 0A9494FA FF015E18
	v_mul_f32_dpp v75, v24, v75 row_newbcast:15 row_mask:0xf bank_mask:0xf// 000000005EF4: 0A9696FA FF015F18
	v_mul_f32_dpp v76, v26, v76 row_newbcast:0 row_mask:0xf bank_mask:0xf// 000000005EFC: 0A9898FA FF01501A
	v_mul_f32_dpp v77, v26, v77 row_newbcast:1 row_mask:0xf bank_mask:0xf// 000000005F04: 0A9A9AFA FF01511A
	v_mul_f32_dpp v78, v26, v78 row_newbcast:2 row_mask:0xf bank_mask:0xf// 000000005F0C: 0A9C9CFA FF01521A
	v_mul_f32_dpp v79, v26, v79 row_newbcast:3 row_mask:0xf bank_mask:0xf// 000000005F14: 0A9E9EFA FF01531A
	v_mul_f32_dpp v80, v26, v80 row_newbcast:0 row_mask:0xf bank_mask:0xf// 000000005F1C: 0AA0A0FA FF01501A
	v_mul_f32_dpp v81, v26, v81 row_newbcast:1 row_mask:0xf bank_mask:0xf// 000000005F24: 0AA2A2FA FF01511A
	v_mul_f32_dpp v82, v26, v82 row_newbcast:2 row_mask:0xf bank_mask:0xf// 000000005F2C: 0AA4A4FA FF01521A
	v_mul_f32_dpp v83, v26, v83 row_newbcast:3 row_mask:0xf bank_mask:0xf// 000000005F34: 0AA6A6FA FF01531A
	v_mul_f32_dpp v84, v26, v84 row_newbcast:4 row_mask:0xf bank_mask:0xf// 000000005F3C: 0AA8A8FA FF01541A
	v_mul_f32_dpp v85, v26, v85 row_newbcast:5 row_mask:0xf bank_mask:0xf// 000000005F44: 0AAAAAFA FF01551A
	v_mul_f32_dpp v86, v26, v86 row_newbcast:6 row_mask:0xf bank_mask:0xf// 000000005F4C: 0AACACFA FF01561A
	v_mul_f32_dpp v87, v26, v87 row_newbcast:7 row_mask:0xf bank_mask:0xf// 000000005F54: 0AAEAEFA FF01571A
	v_mul_f32_dpp v88, v26, v88 row_newbcast:4 row_mask:0xf bank_mask:0xf// 000000005F5C: 0AB0B0FA FF01541A
	v_mul_f32_dpp v89, v26, v89 row_newbcast:5 row_mask:0xf bank_mask:0xf// 000000005F64: 0AB2B2FA FF01551A
	v_mul_f32_dpp v90, v26, v90 row_newbcast:6 row_mask:0xf bank_mask:0xf// 000000005F6C: 0AB4B4FA FF01561A
	v_mul_f32_dpp v91, v26, v91 row_newbcast:7 row_mask:0xf bank_mask:0xf// 000000005F74: 0AB6B6FA FF01571A
	v_mul_f32_dpp v92, v26, v92 row_newbcast:8 row_mask:0xf bank_mask:0xf// 000000005F7C: 0AB8B8FA FF01581A
	v_mul_f32_dpp v93, v26, v93 row_newbcast:9 row_mask:0xf bank_mask:0xf// 000000005F84: 0ABABAFA FF01591A
	v_mul_f32_dpp v94, v26, v94 row_newbcast:10 row_mask:0xf bank_mask:0xf// 000000005F8C: 0ABCBCFA FF015A1A
	v_mul_f32_dpp v95, v26, v95 row_newbcast:11 row_mask:0xf bank_mask:0xf// 000000005F94: 0ABEBEFA FF015B1A
	v_mul_f32_dpp v96, v26, v96 row_newbcast:8 row_mask:0xf bank_mask:0xf// 000000005F9C: 0AC0C0FA FF01581A
	v_mul_f32_dpp v97, v26, v97 row_newbcast:9 row_mask:0xf bank_mask:0xf// 000000005FA4: 0AC2C2FA FF01591A
	v_mul_f32_dpp v98, v26, v98 row_newbcast:10 row_mask:0xf bank_mask:0xf// 000000005FAC: 0AC4C4FA FF015A1A
	v_mul_f32_dpp v99, v26, v99 row_newbcast:11 row_mask:0xf bank_mask:0xf// 000000005FB4: 0AC6C6FA FF015B1A
	v_mul_f32_dpp v100, v26, v100 row_newbcast:12 row_mask:0xf bank_mask:0xf// 000000005FBC: 0AC8C8FA FF015C1A
	v_mul_f32_dpp v101, v26, v101 row_newbcast:13 row_mask:0xf bank_mask:0xf// 000000005FC4: 0ACACAFA FF015D1A
	v_mul_f32_dpp v102, v26, v102 row_newbcast:14 row_mask:0xf bank_mask:0xf// 000000005FCC: 0ACCCCFA FF015E1A
	v_mul_f32_dpp v103, v26, v103 row_newbcast:15 row_mask:0xf bank_mask:0xf// 000000005FD4: 0ACECEFA FF015F1A
	v_mul_f32_dpp v104, v26, v104 row_newbcast:12 row_mask:0xf bank_mask:0xf// 000000005FDC: 0AD0D0FA FF015C1A
	v_mul_f32_dpp v105, v26, v105 row_newbcast:13 row_mask:0xf bank_mask:0xf// 000000005FE4: 0AD2D2FA FF015D1A
	v_mul_f32_dpp v106, v26, v106 row_newbcast:14 row_mask:0xf bank_mask:0xf// 000000005FEC: 0AD4D4FA FF015E1A
	v_mul_f32_dpp v107, v26, v107 row_newbcast:15 row_mask:0xf bank_mask:0xf// 000000005FF4: 0AD6D6FA FF015F1A
	v_mul_f32_e32 v30, v30, v108                               // 000000005FFC: 0A3CD91E
	v_mov_b32_e32 v4, v30                                      // 000000006000: 7E08031E
	v_mov_b32_e32 v5, v4                                       // 000000006004: 7E0A0304
	v_pk_mul_f32 v[44:45], v[4:5], v[44:45]                    // 000000006008: D3B1402C 18025904
	v_pk_mul_f32 v[76:77], v[4:5], v[76:77]                    // 000000006010: D3B1404C 18029904
	v_pk_mul_f32 v[46:47], v[4:5], v[46:47]                    // 000000006018: D3B1402E 18025D04
	v_pk_mul_f32 v[78:79], v[4:5], v[78:79]                    // 000000006020: D3B1404E 18029D04
	v_pk_mul_f32 v[52:53], v[4:5], v[52:53]                    // 000000006028: D3B14034 18026904
	v_pk_mul_f32 v[84:85], v[4:5], v[84:85]                    // 000000006030: D3B14054 1802A904
	v_pk_mul_f32 v[54:55], v[4:5], v[54:55]                    // 000000006038: D3B14036 18026D04
	v_pk_mul_f32 v[86:87], v[4:5], v[86:87]                    // 000000006040: D3B14056 1802AD04
	v_pk_mul_f32 v[60:61], v[4:5], v[60:61]                    // 000000006048: D3B1403C 18027904
	v_pk_mul_f32 v[92:93], v[4:5], v[92:93]                    // 000000006050: D3B1405C 1802B904
	v_pk_mul_f32 v[62:63], v[4:5], v[62:63]                    // 000000006058: D3B1403E 18027D04
	v_pk_mul_f32 v[94:95], v[4:5], v[94:95]                    // 000000006060: D3B1405E 1802BD04
	v_pk_mul_f32 v[68:69], v[4:5], v[68:69]                    // 000000006068: D3B14044 18028904
	v_pk_mul_f32 v[100:101], v[4:5], v[100:101]                // 000000006070: D3B14064 1802C904
	v_pk_mul_f32 v[70:71], v[4:5], v[70:71]                    // 000000006078: D3B14046 18028D04
	v_pk_mul_f32 v[102:103], v[4:5], v[102:103]                // 000000006080: D3B14066 1802CD04
	v_mul_f32_e32 v31, v31, v109                               // 000000006088: 0A3EDB1F
	v_mov_b32_e32 v4, v31                                      // 00000000608C: 7E08031F
	v_mov_b32_e32 v5, v4                                       // 000000006090: 7E0A0304
	v_pk_mul_f32 v[48:49], v[4:5], v[48:49]                    // 000000006094: D3B14030 18026104
	v_pk_mul_f32 v[80:81], v[4:5], v[80:81]                    // 00000000609C: D3B14050 1802A104
	v_pk_mul_f32 v[50:51], v[4:5], v[50:51]                    // 0000000060A4: D3B14032 18026504
	v_pk_mul_f32 v[82:83], v[4:5], v[82:83]                    // 0000000060AC: D3B14052 1802A504
	v_pk_mul_f32 v[56:57], v[4:5], v[56:57]                    // 0000000060B4: D3B14038 18027104
	v_pk_mul_f32 v[88:89], v[4:5], v[88:89]                    // 0000000060BC: D3B14058 1802B104
	v_pk_mul_f32 v[58:59], v[4:5], v[58:59]                    // 0000000060C4: D3B1403A 18027504
	v_pk_mul_f32 v[90:91], v[4:5], v[90:91]                    // 0000000060CC: D3B1405A 1802B504
	v_pk_mul_f32 v[64:65], v[4:5], v[64:65]                    // 0000000060D4: D3B14040 18028104
	v_pk_mul_f32 v[96:97], v[4:5], v[96:97]                    // 0000000060DC: D3B14060 1802C104
	v_pk_mul_f32 v[66:67], v[4:5], v[66:67]                    // 0000000060E4: D3B14042 18028504
	v_pk_mul_f32 v[98:99], v[4:5], v[98:99]                    // 0000000060EC: D3B14062 1802C504
	v_pk_mul_f32 v[72:73], v[4:5], v[72:73]                    // 0000000060F4: D3B14048 18029104
	v_pk_mul_f32 v[104:105], v[4:5], v[104:105]                // 0000000060FC: D3B14068 1802D104
	v_pk_mul_f32 v[74:75], v[4:5], v[74:75]                    // 000000006104: D3B1404A 18029504
	v_pk_mul_f32 v[106:107], v[4:5], v[106:107]                // 00000000610C: D3B1406A 1802D504
	s_cmp_eq_u32 s88, 0                                        // 000000006114: BF068058
	s_cbranch_scc0 label_11F3                                  // 000000006118: BF840429
	s_cmp_eq_u32 s89, 0                                        // 00000000611C: BF068059
	s_cbranch_scc1 label_0F11                                  // 000000006120: BF850145
	v_mov_b32_e32 v8, v1                                       // 000000006124: 7E100301
	v_mov_b32_e32 v9, v1                                       // 000000006128: 7E120301
	s_mov_b32 s60, s6                                          // 00000000612C: BEBC0006
	s_mov_b32 s61, s6                                          // 000000006130: BEBD0006
	v_pk_mul_f32 v[4:5], v[44:45], v[44:45]                    // 000000006134: D3B14004 1802592C
	v_pk_mul_f32 v[6:7], v[46:47], v[46:47]                    // 00000000613C: D3B14006 18025D2E
	v_pk_fma_f32 v[4:5], v[4:5], s[78:79], v[8:9]              // 000000006144: D3B04004 1C209D04
	v_pk_fma_f32 v[6:7], v[6:7], s[78:79], v[8:9]              // 00000000614C: D3B04006 1C209D06
	v_pk_mul_f32 v[4:5], v[4:5], v[44:45]                      // 000000006154: D3B14004 18025904
	v_pk_mul_f32 v[6:7], v[6:7], v[46:47]                      // 00000000615C: D3B14006 18025D06
	v_pk_mul_f32 v[4:5], v[4:5], s[60:61]                      // 000000006164: D3B14004 18007904
	v_pk_mul_f32 v[6:7], v[6:7], s[60:61]                      // 00000000616C: D3B14006 18007906
	v_exp_f32_e32 v4, v4                                       // 000000006174: 7E084104
	v_exp_f32_e32 v5, v5                                       // 000000006178: 7E0A4105
	v_exp_f32_e32 v6, v6                                       // 00000000617C: 7E0C4106
	v_exp_f32_e32 v7, v7                                       // 000000006180: 7E0E4107
	v_add_f32_e64 v4, v4, 1.0                                  // 000000006184: D1010004 0001E504
	v_add_f32_e64 v5, v5, 1.0                                  // 00000000618C: D1010005 0001E505
	v_add_f32_e64 v6, v6, 1.0                                  // 000000006194: D1010006 0001E506
	v_add_f32_e64 v7, v7, 1.0                                  // 00000000619C: D1010007 0001E507
	v_rcp_f32_e32 v4, v4                                       // 0000000061A4: 7E084504
	v_rcp_f32_e32 v5, v5                                       // 0000000061A8: 7E0A4505
	v_rcp_f32_e32 v6, v6                                       // 0000000061AC: 7E0C4506
	v_rcp_f32_e32 v7, v7                                       // 0000000061B0: 7E0E4507
	v_mul_f32_e32 v44, v44, v4                                 // 0000000061B4: 0A58092C
	v_mul_f32_e32 v45, v45, v5                                 // 0000000061B8: 0A5A0B2D
	v_mul_f32_e32 v46, v46, v6                                 // 0000000061BC: 0A5C0D2E
	v_mul_f32_e32 v47, v47, v7                                 // 0000000061C0: 0A5E0F2F
	v_mul_f32_e32 v44, v44, v76                                // 0000000061C4: 0A58992C
	v_mul_f32_e32 v45, v45, v77                                // 0000000061C8: 0A5A9B2D
	v_mul_f32_e32 v46, v46, v78                                // 0000000061CC: 0A5C9D2E
	v_mul_f32_e32 v47, v47, v79                                // 0000000061D0: 0A5E9F2F
	v_pk_mul_f32 v[4:5], v[48:49], v[48:49]                    // 0000000061D4: D3B14004 18026130
	v_pk_mul_f32 v[6:7], v[50:51], v[50:51]                    // 0000000061DC: D3B14006 18026532
	v_pk_fma_f32 v[4:5], v[4:5], s[78:79], v[8:9]              // 0000000061E4: D3B04004 1C209D04
	v_pk_fma_f32 v[6:7], v[6:7], s[78:79], v[8:9]              // 0000000061EC: D3B04006 1C209D06
	v_pk_mul_f32 v[4:5], v[4:5], v[48:49]                      // 0000000061F4: D3B14004 18026104
	v_pk_mul_f32 v[6:7], v[6:7], v[50:51]                      // 0000000061FC: D3B14006 18026506
	v_pk_mul_f32 v[4:5], v[4:5], s[60:61]                      // 000000006204: D3B14004 18007904
	v_pk_mul_f32 v[6:7], v[6:7], s[60:61]                      // 00000000620C: D3B14006 18007906
	v_exp_f32_e32 v4, v4                                       // 000000006214: 7E084104
	v_exp_f32_e32 v5, v5                                       // 000000006218: 7E0A4105
	v_exp_f32_e32 v6, v6                                       // 00000000621C: 7E0C4106
	v_exp_f32_e32 v7, v7                                       // 000000006220: 7E0E4107
	v_add_f32_e64 v4, v4, 1.0                                  // 000000006224: D1010004 0001E504
	v_add_f32_e64 v5, v5, 1.0                                  // 00000000622C: D1010005 0001E505
	v_add_f32_e64 v6, v6, 1.0                                  // 000000006234: D1010006 0001E506
	v_add_f32_e64 v7, v7, 1.0                                  // 00000000623C: D1010007 0001E507
	v_rcp_f32_e32 v4, v4                                       // 000000006244: 7E084504
	v_rcp_f32_e32 v5, v5                                       // 000000006248: 7E0A4505
	v_rcp_f32_e32 v6, v6                                       // 00000000624C: 7E0C4506
	v_rcp_f32_e32 v7, v7                                       // 000000006250: 7E0E4507
	v_mul_f32_e32 v48, v48, v4                                 // 000000006254: 0A600930
	v_mul_f32_e32 v49, v49, v5                                 // 000000006258: 0A620B31
	v_mul_f32_e32 v50, v50, v6                                 // 00000000625C: 0A640D32
	v_mul_f32_e32 v51, v51, v7                                 // 000000006260: 0A660F33
	v_mul_f32_e32 v48, v48, v80                                // 000000006264: 0A60A130
	v_mul_f32_e32 v49, v49, v81                                // 000000006268: 0A62A331
	v_mul_f32_e32 v50, v50, v82                                // 00000000626C: 0A64A532
	v_mul_f32_e32 v51, v51, v83                                // 000000006270: 0A66A733
	v_pk_mul_f32 v[4:5], v[52:53], v[52:53]                    // 000000006274: D3B14004 18026934
	v_pk_mul_f32 v[6:7], v[54:55], v[54:55]                    // 00000000627C: D3B14006 18026D36
	v_pk_fma_f32 v[4:5], v[4:5], s[78:79], v[8:9]              // 000000006284: D3B04004 1C209D04
	v_pk_fma_f32 v[6:7], v[6:7], s[78:79], v[8:9]              // 00000000628C: D3B04006 1C209D06
	v_pk_mul_f32 v[4:5], v[4:5], v[52:53]                      // 000000006294: D3B14004 18026904
	v_pk_mul_f32 v[6:7], v[6:7], v[54:55]                      // 00000000629C: D3B14006 18026D06
	v_pk_mul_f32 v[4:5], v[4:5], s[60:61]                      // 0000000062A4: D3B14004 18007904
	v_pk_mul_f32 v[6:7], v[6:7], s[60:61]                      // 0000000062AC: D3B14006 18007906
	v_exp_f32_e32 v4, v4                                       // 0000000062B4: 7E084104
	v_exp_f32_e32 v5, v5                                       // 0000000062B8: 7E0A4105
	v_exp_f32_e32 v6, v6                                       // 0000000062BC: 7E0C4106
	v_exp_f32_e32 v7, v7                                       // 0000000062C0: 7E0E4107
	v_add_f32_e64 v4, v4, 1.0                                  // 0000000062C4: D1010004 0001E504
	v_add_f32_e64 v5, v5, 1.0                                  // 0000000062CC: D1010005 0001E505
	v_add_f32_e64 v6, v6, 1.0                                  // 0000000062D4: D1010006 0001E506
	v_add_f32_e64 v7, v7, 1.0                                  // 0000000062DC: D1010007 0001E507
	v_rcp_f32_e32 v4, v4                                       // 0000000062E4: 7E084504
	v_rcp_f32_e32 v5, v5                                       // 0000000062E8: 7E0A4505
	v_rcp_f32_e32 v6, v6                                       // 0000000062EC: 7E0C4506
	v_rcp_f32_e32 v7, v7                                       // 0000000062F0: 7E0E4507
	v_mul_f32_e32 v52, v52, v4                                 // 0000000062F4: 0A680934
	v_mul_f32_e32 v53, v53, v5                                 // 0000000062F8: 0A6A0B35
	v_mul_f32_e32 v54, v54, v6                                 // 0000000062FC: 0A6C0D36
	v_mul_f32_e32 v55, v55, v7                                 // 000000006300: 0A6E0F37
	v_mul_f32_e32 v52, v52, v84                                // 000000006304: 0A68A934
	v_mul_f32_e32 v53, v53, v85                                // 000000006308: 0A6AAB35
	v_mul_f32_e32 v54, v54, v86                                // 00000000630C: 0A6CAD36
	v_mul_f32_e32 v55, v55, v87                                // 000000006310: 0A6EAF37
	v_pk_mul_f32 v[4:5], v[56:57], v[56:57]                    // 000000006314: D3B14004 18027138
	v_pk_mul_f32 v[6:7], v[58:59], v[58:59]                    // 00000000631C: D3B14006 1802753A
	v_pk_fma_f32 v[4:5], v[4:5], s[78:79], v[8:9]              // 000000006324: D3B04004 1C209D04
	v_pk_fma_f32 v[6:7], v[6:7], s[78:79], v[8:9]              // 00000000632C: D3B04006 1C209D06
	v_pk_mul_f32 v[4:5], v[4:5], v[56:57]                      // 000000006334: D3B14004 18027104
	v_pk_mul_f32 v[6:7], v[6:7], v[58:59]                      // 00000000633C: D3B14006 18027506
	v_pk_mul_f32 v[4:5], v[4:5], s[60:61]                      // 000000006344: D3B14004 18007904
	v_pk_mul_f32 v[6:7], v[6:7], s[60:61]                      // 00000000634C: D3B14006 18007906
	v_exp_f32_e32 v4, v4                                       // 000000006354: 7E084104
	v_exp_f32_e32 v5, v5                                       // 000000006358: 7E0A4105
	v_exp_f32_e32 v6, v6                                       // 00000000635C: 7E0C4106
	v_exp_f32_e32 v7, v7                                       // 000000006360: 7E0E4107
	v_add_f32_e64 v4, v4, 1.0                                  // 000000006364: D1010004 0001E504
	v_add_f32_e64 v5, v5, 1.0                                  // 00000000636C: D1010005 0001E505
	v_add_f32_e64 v6, v6, 1.0                                  // 000000006374: D1010006 0001E506
	v_add_f32_e64 v7, v7, 1.0                                  // 00000000637C: D1010007 0001E507
	v_rcp_f32_e32 v4, v4                                       // 000000006384: 7E084504
	v_rcp_f32_e32 v5, v5                                       // 000000006388: 7E0A4505
	v_rcp_f32_e32 v6, v6                                       // 00000000638C: 7E0C4506
	v_rcp_f32_e32 v7, v7                                       // 000000006390: 7E0E4507
	v_mul_f32_e32 v56, v56, v4                                 // 000000006394: 0A700938
	v_mul_f32_e32 v57, v57, v5                                 // 000000006398: 0A720B39
	v_mul_f32_e32 v58, v58, v6                                 // 00000000639C: 0A740D3A
	v_mul_f32_e32 v59, v59, v7                                 // 0000000063A0: 0A760F3B
	v_mul_f32_e32 v56, v56, v88                                // 0000000063A4: 0A70B138
	v_mul_f32_e32 v57, v57, v89                                // 0000000063A8: 0A72B339
	v_mul_f32_e32 v58, v58, v90                                // 0000000063AC: 0A74B53A
	v_mul_f32_e32 v59, v59, v91                                // 0000000063B0: 0A76B73B
	v_pk_mul_f32 v[4:5], v[60:61], v[60:61]                    // 0000000063B4: D3B14004 1802793C
	v_pk_mul_f32 v[6:7], v[62:63], v[62:63]                    // 0000000063BC: D3B14006 18027D3E
	v_pk_fma_f32 v[4:5], v[4:5], s[78:79], v[8:9]              // 0000000063C4: D3B04004 1C209D04
	v_pk_fma_f32 v[6:7], v[6:7], s[78:79], v[8:9]              // 0000000063CC: D3B04006 1C209D06
	v_pk_mul_f32 v[4:5], v[4:5], v[60:61]                      // 0000000063D4: D3B14004 18027904
	v_pk_mul_f32 v[6:7], v[6:7], v[62:63]                      // 0000000063DC: D3B14006 18027D06
	v_pk_mul_f32 v[4:5], v[4:5], s[60:61]                      // 0000000063E4: D3B14004 18007904
	v_pk_mul_f32 v[6:7], v[6:7], s[60:61]                      // 0000000063EC: D3B14006 18007906
	v_exp_f32_e32 v4, v4                                       // 0000000063F4: 7E084104
	v_exp_f32_e32 v5, v5                                       // 0000000063F8: 7E0A4105
	v_exp_f32_e32 v6, v6                                       // 0000000063FC: 7E0C4106
	v_exp_f32_e32 v7, v7                                       // 000000006400: 7E0E4107
	v_add_f32_e64 v4, v4, 1.0                                  // 000000006404: D1010004 0001E504
	v_add_f32_e64 v5, v5, 1.0                                  // 00000000640C: D1010005 0001E505
	v_add_f32_e64 v6, v6, 1.0                                  // 000000006414: D1010006 0001E506
	v_add_f32_e64 v7, v7, 1.0                                  // 00000000641C: D1010007 0001E507
	v_rcp_f32_e32 v4, v4                                       // 000000006424: 7E084504
	v_rcp_f32_e32 v5, v5                                       // 000000006428: 7E0A4505
	v_rcp_f32_e32 v6, v6                                       // 00000000642C: 7E0C4506
	v_rcp_f32_e32 v7, v7                                       // 000000006430: 7E0E4507
	v_mul_f32_e32 v60, v60, v4                                 // 000000006434: 0A78093C
	v_mul_f32_e32 v61, v61, v5                                 // 000000006438: 0A7A0B3D
	v_mul_f32_e32 v62, v62, v6                                 // 00000000643C: 0A7C0D3E
	v_mul_f32_e32 v63, v63, v7                                 // 000000006440: 0A7E0F3F
	v_mul_f32_e32 v60, v60, v92                                // 000000006444: 0A78B93C
	v_mul_f32_e32 v61, v61, v93                                // 000000006448: 0A7ABB3D
	v_mul_f32_e32 v62, v62, v94                                // 00000000644C: 0A7CBD3E
	v_mul_f32_e32 v63, v63, v95                                // 000000006450: 0A7EBF3F
	v_pk_mul_f32 v[4:5], v[64:65], v[64:65]                    // 000000006454: D3B14004 18028140
	v_pk_mul_f32 v[6:7], v[66:67], v[66:67]                    // 00000000645C: D3B14006 18028542
	v_pk_fma_f32 v[4:5], v[4:5], s[78:79], v[8:9]              // 000000006464: D3B04004 1C209D04
	v_pk_fma_f32 v[6:7], v[6:7], s[78:79], v[8:9]              // 00000000646C: D3B04006 1C209D06
	v_pk_mul_f32 v[4:5], v[4:5], v[64:65]                      // 000000006474: D3B14004 18028104
	v_pk_mul_f32 v[6:7], v[6:7], v[66:67]                      // 00000000647C: D3B14006 18028506
	v_pk_mul_f32 v[4:5], v[4:5], s[60:61]                      // 000000006484: D3B14004 18007904
	v_pk_mul_f32 v[6:7], v[6:7], s[60:61]                      // 00000000648C: D3B14006 18007906
	v_exp_f32_e32 v4, v4                                       // 000000006494: 7E084104
	v_exp_f32_e32 v5, v5                                       // 000000006498: 7E0A4105
	v_exp_f32_e32 v6, v6                                       // 00000000649C: 7E0C4106
	v_exp_f32_e32 v7, v7                                       // 0000000064A0: 7E0E4107
	v_add_f32_e64 v4, v4, 1.0                                  // 0000000064A4: D1010004 0001E504
	v_add_f32_e64 v5, v5, 1.0                                  // 0000000064AC: D1010005 0001E505
	v_add_f32_e64 v6, v6, 1.0                                  // 0000000064B4: D1010006 0001E506
	v_add_f32_e64 v7, v7, 1.0                                  // 0000000064BC: D1010007 0001E507
	v_rcp_f32_e32 v4, v4                                       // 0000000064C4: 7E084504
	v_rcp_f32_e32 v5, v5                                       // 0000000064C8: 7E0A4505
	v_rcp_f32_e32 v6, v6                                       // 0000000064CC: 7E0C4506
	v_rcp_f32_e32 v7, v7                                       // 0000000064D0: 7E0E4507
	v_mul_f32_e32 v64, v64, v4                                 // 0000000064D4: 0A800940
	v_mul_f32_e32 v65, v65, v5                                 // 0000000064D8: 0A820B41
	v_mul_f32_e32 v66, v66, v6                                 // 0000000064DC: 0A840D42
	v_mul_f32_e32 v67, v67, v7                                 // 0000000064E0: 0A860F43
	v_mul_f32_e32 v64, v64, v96                                // 0000000064E4: 0A80C140
	v_mul_f32_e32 v65, v65, v97                                // 0000000064E8: 0A82C341
	v_mul_f32_e32 v66, v66, v98                                // 0000000064EC: 0A84C542
	v_mul_f32_e32 v67, v67, v99                                // 0000000064F0: 0A86C743
	v_pk_mul_f32 v[4:5], v[68:69], v[68:69]                    // 0000000064F4: D3B14004 18028944
	v_pk_mul_f32 v[6:7], v[70:71], v[70:71]                    // 0000000064FC: D3B14006 18028D46
	v_pk_fma_f32 v[4:5], v[4:5], s[78:79], v[8:9]              // 000000006504: D3B04004 1C209D04
	v_pk_fma_f32 v[6:7], v[6:7], s[78:79], v[8:9]              // 00000000650C: D3B04006 1C209D06
	v_pk_mul_f32 v[4:5], v[4:5], v[68:69]                      // 000000006514: D3B14004 18028904
	v_pk_mul_f32 v[6:7], v[6:7], v[70:71]                      // 00000000651C: D3B14006 18028D06
	v_pk_mul_f32 v[4:5], v[4:5], s[60:61]                      // 000000006524: D3B14004 18007904
	v_pk_mul_f32 v[6:7], v[6:7], s[60:61]                      // 00000000652C: D3B14006 18007906
	v_exp_f32_e32 v4, v4                                       // 000000006534: 7E084104
	v_exp_f32_e32 v5, v5                                       // 000000006538: 7E0A4105
	v_exp_f32_e32 v6, v6                                       // 00000000653C: 7E0C4106
	v_exp_f32_e32 v7, v7                                       // 000000006540: 7E0E4107
	v_add_f32_e64 v4, v4, 1.0                                  // 000000006544: D1010004 0001E504
	v_add_f32_e64 v5, v5, 1.0                                  // 00000000654C: D1010005 0001E505
	v_add_f32_e64 v6, v6, 1.0                                  // 000000006554: D1010006 0001E506
	v_add_f32_e64 v7, v7, 1.0                                  // 00000000655C: D1010007 0001E507
	v_rcp_f32_e32 v4, v4                                       // 000000006564: 7E084504
	v_rcp_f32_e32 v5, v5                                       // 000000006568: 7E0A4505
	v_rcp_f32_e32 v6, v6                                       // 00000000656C: 7E0C4506
	v_rcp_f32_e32 v7, v7                                       // 000000006570: 7E0E4507
	v_mul_f32_e32 v68, v68, v4                                 // 000000006574: 0A880944
	v_mul_f32_e32 v69, v69, v5                                 // 000000006578: 0A8A0B45
	v_mul_f32_e32 v70, v70, v6                                 // 00000000657C: 0A8C0D46
	v_mul_f32_e32 v71, v71, v7                                 // 000000006580: 0A8E0F47
	v_mul_f32_e32 v68, v68, v100                               // 000000006584: 0A88C944
	v_mul_f32_e32 v69, v69, v101                               // 000000006588: 0A8ACB45
	v_mul_f32_e32 v70, v70, v102                               // 00000000658C: 0A8CCD46
	v_mul_f32_e32 v71, v71, v103                               // 000000006590: 0A8ECF47
	v_pk_mul_f32 v[4:5], v[72:73], v[72:73]                    // 000000006594: D3B14004 18029148
	v_pk_mul_f32 v[6:7], v[74:75], v[74:75]                    // 00000000659C: D3B14006 1802954A
	v_pk_fma_f32 v[4:5], v[4:5], s[78:79], v[8:9]              // 0000000065A4: D3B04004 1C209D04
	v_pk_fma_f32 v[6:7], v[6:7], s[78:79], v[8:9]              // 0000000065AC: D3B04006 1C209D06
	v_pk_mul_f32 v[4:5], v[4:5], v[72:73]                      // 0000000065B4: D3B14004 18029104
	v_pk_mul_f32 v[6:7], v[6:7], v[74:75]                      // 0000000065BC: D3B14006 18029506
	v_pk_mul_f32 v[4:5], v[4:5], s[60:61]                      // 0000000065C4: D3B14004 18007904
	v_pk_mul_f32 v[6:7], v[6:7], s[60:61]                      // 0000000065CC: D3B14006 18007906
	v_exp_f32_e32 v4, v4                                       // 0000000065D4: 7E084104
	v_exp_f32_e32 v5, v5                                       // 0000000065D8: 7E0A4105
	v_exp_f32_e32 v6, v6                                       // 0000000065DC: 7E0C4106
	v_exp_f32_e32 v7, v7                                       // 0000000065E0: 7E0E4107
	v_add_f32_e64 v4, v4, 1.0                                  // 0000000065E4: D1010004 0001E504
	v_add_f32_e64 v5, v5, 1.0                                  // 0000000065EC: D1010005 0001E505
	v_add_f32_e64 v6, v6, 1.0                                  // 0000000065F4: D1010006 0001E506
	v_add_f32_e64 v7, v7, 1.0                                  // 0000000065FC: D1010007 0001E507
	v_rcp_f32_e32 v4, v4                                       // 000000006604: 7E084504
	v_rcp_f32_e32 v5, v5                                       // 000000006608: 7E0A4505
	v_rcp_f32_e32 v6, v6                                       // 00000000660C: 7E0C4506
	v_rcp_f32_e32 v7, v7                                       // 000000006610: 7E0E4507
	v_mul_f32_e32 v72, v72, v4                                 // 000000006614: 0A900948
	v_mul_f32_e32 v73, v73, v5                                 // 000000006618: 0A920B49
	v_mul_f32_e32 v74, v74, v6                                 // 00000000661C: 0A940D4A
	v_mul_f32_e32 v75, v75, v7                                 // 000000006620: 0A960F4B
	v_mul_f32_e32 v72, v72, v104                               // 000000006624: 0A90D148
	v_mul_f32_e32 v73, v73, v105                               // 000000006628: 0A92D349
	v_mul_f32_e32 v74, v74, v106                               // 00000000662C: 0A94D54A
	v_mul_f32_e32 v75, v75, v107                               // 000000006630: 0A96D74B
	s_branch label_1011                                        // 000000006634: BF820100

0000000000006638 <label_0F11>:
	v_mul_f32_e64 v4, -v44, s6                                 // 000000006638: D1050004 20000D2C
	v_mul_f32_e64 v5, -v45, s6                                 // 000000006640: D1050005 20000D2D
	v_mul_f32_e64 v6, -v46, s6                                 // 000000006648: D1050006 20000D2E
	v_mul_f32_e64 v7, -v47, s6                                 // 000000006650: D1050007 20000D2F
	v_exp_f32_e32 v4, v4                                       // 000000006658: 7E084104
	v_exp_f32_e32 v5, v5                                       // 00000000665C: 7E0A4105
	v_exp_f32_e32 v6, v6                                       // 000000006660: 7E0C4106
	v_exp_f32_e32 v7, v7                                       // 000000006664: 7E0E4107
	v_add_f32_e64 v4, v4, 1.0                                  // 000000006668: D1010004 0001E504
	v_add_f32_e64 v5, v5, 1.0                                  // 000000006670: D1010005 0001E505
	v_add_f32_e64 v6, v6, 1.0                                  // 000000006678: D1010006 0001E506
	v_add_f32_e64 v7, v7, 1.0                                  // 000000006680: D1010007 0001E507
	v_rcp_f32_e32 v4, v4                                       // 000000006688: 7E084504
	v_rcp_f32_e32 v5, v5                                       // 00000000668C: 7E0A4505
	v_rcp_f32_e32 v6, v6                                       // 000000006690: 7E0C4506
	v_rcp_f32_e32 v7, v7                                       // 000000006694: 7E0E4507
	v_mul_f32_e32 v44, v44, v4                                 // 000000006698: 0A58092C
	v_mul_f32_e32 v45, v45, v5                                 // 00000000669C: 0A5A0B2D
	v_mul_f32_e32 v46, v46, v6                                 // 0000000066A0: 0A5C0D2E
	v_mul_f32_e32 v47, v47, v7                                 // 0000000066A4: 0A5E0F2F
	v_mul_f32_e32 v44, v44, v76                                // 0000000066A8: 0A58992C
	v_mul_f32_e32 v45, v45, v77                                // 0000000066AC: 0A5A9B2D
	v_mul_f32_e32 v46, v46, v78                                // 0000000066B0: 0A5C9D2E
	v_mul_f32_e32 v47, v47, v79                                // 0000000066B4: 0A5E9F2F
	v_mul_f32_e64 v4, -v48, s6                                 // 0000000066B8: D1050004 20000D30
	v_mul_f32_e64 v5, -v49, s6                                 // 0000000066C0: D1050005 20000D31
	v_mul_f32_e64 v6, -v50, s6                                 // 0000000066C8: D1050006 20000D32
	v_mul_f32_e64 v7, -v51, s6                                 // 0000000066D0: D1050007 20000D33
	v_exp_f32_e32 v4, v4                                       // 0000000066D8: 7E084104
	v_exp_f32_e32 v5, v5                                       // 0000000066DC: 7E0A4105
	v_exp_f32_e32 v6, v6                                       // 0000000066E0: 7E0C4106
	v_exp_f32_e32 v7, v7                                       // 0000000066E4: 7E0E4107
	v_add_f32_e64 v4, v4, 1.0                                  // 0000000066E8: D1010004 0001E504
	v_add_f32_e64 v5, v5, 1.0                                  // 0000000066F0: D1010005 0001E505
	v_add_f32_e64 v6, v6, 1.0                                  // 0000000066F8: D1010006 0001E506
	v_add_f32_e64 v7, v7, 1.0                                  // 000000006700: D1010007 0001E507
	v_rcp_f32_e32 v4, v4                                       // 000000006708: 7E084504
	v_rcp_f32_e32 v5, v5                                       // 00000000670C: 7E0A4505
	v_rcp_f32_e32 v6, v6                                       // 000000006710: 7E0C4506
	v_rcp_f32_e32 v7, v7                                       // 000000006714: 7E0E4507
	v_mul_f32_e32 v48, v48, v4                                 // 000000006718: 0A600930
	v_mul_f32_e32 v49, v49, v5                                 // 00000000671C: 0A620B31
	v_mul_f32_e32 v50, v50, v6                                 // 000000006720: 0A640D32
	v_mul_f32_e32 v51, v51, v7                                 // 000000006724: 0A660F33
	v_mul_f32_e32 v48, v48, v80                                // 000000006728: 0A60A130
	v_mul_f32_e32 v49, v49, v81                                // 00000000672C: 0A62A331
	v_mul_f32_e32 v50, v50, v82                                // 000000006730: 0A64A532
	v_mul_f32_e32 v51, v51, v83                                // 000000006734: 0A66A733
	v_mul_f32_e64 v4, -v52, s6                                 // 000000006738: D1050004 20000D34
	v_mul_f32_e64 v5, -v53, s6                                 // 000000006740: D1050005 20000D35
	v_mul_f32_e64 v6, -v54, s6                                 // 000000006748: D1050006 20000D36
	v_mul_f32_e64 v7, -v55, s6                                 // 000000006750: D1050007 20000D37
	v_exp_f32_e32 v4, v4                                       // 000000006758: 7E084104
	v_exp_f32_e32 v5, v5                                       // 00000000675C: 7E0A4105
	v_exp_f32_e32 v6, v6                                       // 000000006760: 7E0C4106
	v_exp_f32_e32 v7, v7                                       // 000000006764: 7E0E4107
	v_add_f32_e64 v4, v4, 1.0                                  // 000000006768: D1010004 0001E504
	v_add_f32_e64 v5, v5, 1.0                                  // 000000006770: D1010005 0001E505
	v_add_f32_e64 v6, v6, 1.0                                  // 000000006778: D1010006 0001E506
	v_add_f32_e64 v7, v7, 1.0                                  // 000000006780: D1010007 0001E507
	v_rcp_f32_e32 v4, v4                                       // 000000006788: 7E084504
	v_rcp_f32_e32 v5, v5                                       // 00000000678C: 7E0A4505
	v_rcp_f32_e32 v6, v6                                       // 000000006790: 7E0C4506
	v_rcp_f32_e32 v7, v7                                       // 000000006794: 7E0E4507
	v_mul_f32_e32 v52, v52, v4                                 // 000000006798: 0A680934
	v_mul_f32_e32 v53, v53, v5                                 // 00000000679C: 0A6A0B35
	v_mul_f32_e32 v54, v54, v6                                 // 0000000067A0: 0A6C0D36
	v_mul_f32_e32 v55, v55, v7                                 // 0000000067A4: 0A6E0F37
	v_mul_f32_e32 v52, v52, v84                                // 0000000067A8: 0A68A934
	v_mul_f32_e32 v53, v53, v85                                // 0000000067AC: 0A6AAB35
	v_mul_f32_e32 v54, v54, v86                                // 0000000067B0: 0A6CAD36
	v_mul_f32_e32 v55, v55, v87                                // 0000000067B4: 0A6EAF37
	v_mul_f32_e64 v4, -v56, s6                                 // 0000000067B8: D1050004 20000D38
	v_mul_f32_e64 v5, -v57, s6                                 // 0000000067C0: D1050005 20000D39
	v_mul_f32_e64 v6, -v58, s6                                 // 0000000067C8: D1050006 20000D3A
	v_mul_f32_e64 v7, -v59, s6                                 // 0000000067D0: D1050007 20000D3B
	v_exp_f32_e32 v4, v4                                       // 0000000067D8: 7E084104
	v_exp_f32_e32 v5, v5                                       // 0000000067DC: 7E0A4105
	v_exp_f32_e32 v6, v6                                       // 0000000067E0: 7E0C4106
	v_exp_f32_e32 v7, v7                                       // 0000000067E4: 7E0E4107
	v_add_f32_e64 v4, v4, 1.0                                  // 0000000067E8: D1010004 0001E504
	v_add_f32_e64 v5, v5, 1.0                                  // 0000000067F0: D1010005 0001E505
	v_add_f32_e64 v6, v6, 1.0                                  // 0000000067F8: D1010006 0001E506
	v_add_f32_e64 v7, v7, 1.0                                  // 000000006800: D1010007 0001E507
	v_rcp_f32_e32 v4, v4                                       // 000000006808: 7E084504
	v_rcp_f32_e32 v5, v5                                       // 00000000680C: 7E0A4505
	v_rcp_f32_e32 v6, v6                                       // 000000006810: 7E0C4506
	v_rcp_f32_e32 v7, v7                                       // 000000006814: 7E0E4507
	v_mul_f32_e32 v56, v56, v4                                 // 000000006818: 0A700938
	v_mul_f32_e32 v57, v57, v5                                 // 00000000681C: 0A720B39
	v_mul_f32_e32 v58, v58, v6                                 // 000000006820: 0A740D3A
	v_mul_f32_e32 v59, v59, v7                                 // 000000006824: 0A760F3B
	v_mul_f32_e32 v56, v56, v88                                // 000000006828: 0A70B138
	v_mul_f32_e32 v57, v57, v89                                // 00000000682C: 0A72B339
	v_mul_f32_e32 v58, v58, v90                                // 000000006830: 0A74B53A
	v_mul_f32_e32 v59, v59, v91                                // 000000006834: 0A76B73B
	v_mul_f32_e64 v4, -v60, s6                                 // 000000006838: D1050004 20000D3C
	v_mul_f32_e64 v5, -v61, s6                                 // 000000006840: D1050005 20000D3D
	v_mul_f32_e64 v6, -v62, s6                                 // 000000006848: D1050006 20000D3E
	v_mul_f32_e64 v7, -v63, s6                                 // 000000006850: D1050007 20000D3F
	v_exp_f32_e32 v4, v4                                       // 000000006858: 7E084104
	v_exp_f32_e32 v5, v5                                       // 00000000685C: 7E0A4105
	v_exp_f32_e32 v6, v6                                       // 000000006860: 7E0C4106
	v_exp_f32_e32 v7, v7                                       // 000000006864: 7E0E4107
	v_add_f32_e64 v4, v4, 1.0                                  // 000000006868: D1010004 0001E504
	v_add_f32_e64 v5, v5, 1.0                                  // 000000006870: D1010005 0001E505
	v_add_f32_e64 v6, v6, 1.0                                  // 000000006878: D1010006 0001E506
	v_add_f32_e64 v7, v7, 1.0                                  // 000000006880: D1010007 0001E507
	v_rcp_f32_e32 v4, v4                                       // 000000006888: 7E084504
	v_rcp_f32_e32 v5, v5                                       // 00000000688C: 7E0A4505
	v_rcp_f32_e32 v6, v6                                       // 000000006890: 7E0C4506
	v_rcp_f32_e32 v7, v7                                       // 000000006894: 7E0E4507
	v_mul_f32_e32 v60, v60, v4                                 // 000000006898: 0A78093C
	v_mul_f32_e32 v61, v61, v5                                 // 00000000689C: 0A7A0B3D
	v_mul_f32_e32 v62, v62, v6                                 // 0000000068A0: 0A7C0D3E
	v_mul_f32_e32 v63, v63, v7                                 // 0000000068A4: 0A7E0F3F
	v_mul_f32_e32 v60, v60, v92                                // 0000000068A8: 0A78B93C
	v_mul_f32_e32 v61, v61, v93                                // 0000000068AC: 0A7ABB3D
	v_mul_f32_e32 v62, v62, v94                                // 0000000068B0: 0A7CBD3E
	v_mul_f32_e32 v63, v63, v95                                // 0000000068B4: 0A7EBF3F
	v_mul_f32_e64 v4, -v64, s6                                 // 0000000068B8: D1050004 20000D40
	v_mul_f32_e64 v5, -v65, s6                                 // 0000000068C0: D1050005 20000D41
	v_mul_f32_e64 v6, -v66, s6                                 // 0000000068C8: D1050006 20000D42
	v_mul_f32_e64 v7, -v67, s6                                 // 0000000068D0: D1050007 20000D43
	v_exp_f32_e32 v4, v4                                       // 0000000068D8: 7E084104
	v_exp_f32_e32 v5, v5                                       // 0000000068DC: 7E0A4105
	v_exp_f32_e32 v6, v6                                       // 0000000068E0: 7E0C4106
	v_exp_f32_e32 v7, v7                                       // 0000000068E4: 7E0E4107
	v_add_f32_e64 v4, v4, 1.0                                  // 0000000068E8: D1010004 0001E504
	v_add_f32_e64 v5, v5, 1.0                                  // 0000000068F0: D1010005 0001E505
	v_add_f32_e64 v6, v6, 1.0                                  // 0000000068F8: D1010006 0001E506
	v_add_f32_e64 v7, v7, 1.0                                  // 000000006900: D1010007 0001E507
	v_rcp_f32_e32 v4, v4                                       // 000000006908: 7E084504
	v_rcp_f32_e32 v5, v5                                       // 00000000690C: 7E0A4505
	v_rcp_f32_e32 v6, v6                                       // 000000006910: 7E0C4506
	v_rcp_f32_e32 v7, v7                                       // 000000006914: 7E0E4507
	v_mul_f32_e32 v64, v64, v4                                 // 000000006918: 0A800940
	v_mul_f32_e32 v65, v65, v5                                 // 00000000691C: 0A820B41
	v_mul_f32_e32 v66, v66, v6                                 // 000000006920: 0A840D42
	v_mul_f32_e32 v67, v67, v7                                 // 000000006924: 0A860F43
	v_mul_f32_e32 v64, v64, v96                                // 000000006928: 0A80C140
	v_mul_f32_e32 v65, v65, v97                                // 00000000692C: 0A82C341
	v_mul_f32_e32 v66, v66, v98                                // 000000006930: 0A84C542
	v_mul_f32_e32 v67, v67, v99                                // 000000006934: 0A86C743
	v_mul_f32_e64 v4, -v68, s6                                 // 000000006938: D1050004 20000D44
	v_mul_f32_e64 v5, -v69, s6                                 // 000000006940: D1050005 20000D45
	v_mul_f32_e64 v6, -v70, s6                                 // 000000006948: D1050006 20000D46
	v_mul_f32_e64 v7, -v71, s6                                 // 000000006950: D1050007 20000D47
	v_exp_f32_e32 v4, v4                                       // 000000006958: 7E084104
	v_exp_f32_e32 v5, v5                                       // 00000000695C: 7E0A4105
	v_exp_f32_e32 v6, v6                                       // 000000006960: 7E0C4106
	v_exp_f32_e32 v7, v7                                       // 000000006964: 7E0E4107
	v_add_f32_e64 v4, v4, 1.0                                  // 000000006968: D1010004 0001E504
	v_add_f32_e64 v5, v5, 1.0                                  // 000000006970: D1010005 0001E505
	v_add_f32_e64 v6, v6, 1.0                                  // 000000006978: D1010006 0001E506
	v_add_f32_e64 v7, v7, 1.0                                  // 000000006980: D1010007 0001E507
	v_rcp_f32_e32 v4, v4                                       // 000000006988: 7E084504
	v_rcp_f32_e32 v5, v5                                       // 00000000698C: 7E0A4505
	v_rcp_f32_e32 v6, v6                                       // 000000006990: 7E0C4506
	v_rcp_f32_e32 v7, v7                                       // 000000006994: 7E0E4507
	v_mul_f32_e32 v68, v68, v4                                 // 000000006998: 0A880944
	v_mul_f32_e32 v69, v69, v5                                 // 00000000699C: 0A8A0B45
	v_mul_f32_e32 v70, v70, v6                                 // 0000000069A0: 0A8C0D46
	v_mul_f32_e32 v71, v71, v7                                 // 0000000069A4: 0A8E0F47
	v_mul_f32_e32 v68, v68, v100                               // 0000000069A8: 0A88C944
	v_mul_f32_e32 v69, v69, v101                               // 0000000069AC: 0A8ACB45
	v_mul_f32_e32 v70, v70, v102                               // 0000000069B0: 0A8CCD46
	v_mul_f32_e32 v71, v71, v103                               // 0000000069B4: 0A8ECF47
	v_mul_f32_e64 v4, -v72, s6                                 // 0000000069B8: D1050004 20000D48
	v_mul_f32_e64 v5, -v73, s6                                 // 0000000069C0: D1050005 20000D49
	v_mul_f32_e64 v6, -v74, s6                                 // 0000000069C8: D1050006 20000D4A
	v_mul_f32_e64 v7, -v75, s6                                 // 0000000069D0: D1050007 20000D4B
	v_exp_f32_e32 v4, v4                                       // 0000000069D8: 7E084104
	v_exp_f32_e32 v5, v5                                       // 0000000069DC: 7E0A4105
	v_exp_f32_e32 v6, v6                                       // 0000000069E0: 7E0C4106
	v_exp_f32_e32 v7, v7                                       // 0000000069E4: 7E0E4107
	v_add_f32_e64 v4, v4, 1.0                                  // 0000000069E8: D1010004 0001E504
	v_add_f32_e64 v5, v5, 1.0                                  // 0000000069F0: D1010005 0001E505
	v_add_f32_e64 v6, v6, 1.0                                  // 0000000069F8: D1010006 0001E506
	v_add_f32_e64 v7, v7, 1.0                                  // 000000006A00: D1010007 0001E507
	v_rcp_f32_e32 v4, v4                                       // 000000006A08: 7E084504
	v_rcp_f32_e32 v5, v5                                       // 000000006A0C: 7E0A4505
	v_rcp_f32_e32 v6, v6                                       // 000000006A10: 7E0C4506
	v_rcp_f32_e32 v7, v7                                       // 000000006A14: 7E0E4507
	v_mul_f32_e32 v72, v72, v4                                 // 000000006A18: 0A900948
	v_mul_f32_e32 v73, v73, v5                                 // 000000006A1C: 0A920B49
	v_mul_f32_e32 v74, v74, v6                                 // 000000006A20: 0A940D4A
	v_mul_f32_e32 v75, v75, v7                                 // 000000006A24: 0A960F4B
	v_mul_f32_e32 v72, v72, v104                               // 000000006A28: 0A90D148
	v_mul_f32_e32 v73, v73, v105                               // 000000006A2C: 0A92D349
	v_mul_f32_e32 v74, v74, v106                               // 000000006A30: 0A94D54A
	v_mul_f32_e32 v75, v75, v107                               // 000000006A34: 0A96D74B

0000000000006a38 <label_1011>:
	v_cmp_u_f32_e64 s[46:47], v44, v44                         // 000000006A38: D048002E 0002592C
	v_add3_u32 v16, v44, v19, 1                                // 000000006A40: D1FF0010 0206272C
	v_cndmask_b32_e64 v4, v16, v18, s[46:47]                   // 000000006A48: D1000004 00BA2510
	v_cmp_u_f32_e64 s[46:47], v45, v45                         // 000000006A50: D048002E 00025B2D
	v_add3_u32 v16, v45, v19, 1                                // 000000006A58: D1FF0010 0206272D
	v_cndmask_b32_e64 v5, v16, v18, s[46:47]                   // 000000006A60: D1000005 00BA2510
	v_perm_b32 v44, v5, v4, s52                                // 000000006A68: D1ED002C 00D20905
	v_cmp_u_f32_e64 s[46:47], v46, v46                         // 000000006A70: D048002E 00025D2E
	v_add3_u32 v16, v46, v19, 1                                // 000000006A78: D1FF0010 0206272E
	v_cndmask_b32_e64 v4, v16, v18, s[46:47]                   // 000000006A80: D1000004 00BA2510
	v_cmp_u_f32_e64 s[46:47], v47, v47                         // 000000006A88: D048002E 00025F2F
	v_add3_u32 v16, v47, v19, 1                                // 000000006A90: D1FF0010 0206272F
	v_cndmask_b32_e64 v5, v16, v18, s[46:47]                   // 000000006A98: D1000005 00BA2510
	v_perm_b32 v45, v5, v4, s52                                // 000000006AA0: D1ED002D 00D20905
	v_cmp_u_f32_e64 s[46:47], v48, v48                         // 000000006AA8: D048002E 00026130
	v_add3_u32 v16, v48, v19, 1                                // 000000006AB0: D1FF0010 02062730
	v_cndmask_b32_e64 v4, v16, v18, s[46:47]                   // 000000006AB8: D1000004 00BA2510
	v_cmp_u_f32_e64 s[46:47], v49, v49                         // 000000006AC0: D048002E 00026331
	v_add3_u32 v16, v49, v19, 1                                // 000000006AC8: D1FF0010 02062731
	v_cndmask_b32_e64 v5, v16, v18, s[46:47]                   // 000000006AD0: D1000005 00BA2510
	v_perm_b32 v46, v5, v4, s52                                // 000000006AD8: D1ED002E 00D20905
	v_cmp_u_f32_e64 s[46:47], v50, v50                         // 000000006AE0: D048002E 00026532
	v_add3_u32 v16, v50, v19, 1                                // 000000006AE8: D1FF0010 02062732
	v_cndmask_b32_e64 v4, v16, v18, s[46:47]                   // 000000006AF0: D1000004 00BA2510
	v_cmp_u_f32_e64 s[46:47], v51, v51                         // 000000006AF8: D048002E 00026733
	v_add3_u32 v16, v51, v19, 1                                // 000000006B00: D1FF0010 02062733
	v_cndmask_b32_e64 v5, v16, v18, s[46:47]                   // 000000006B08: D1000005 00BA2510
	v_perm_b32 v47, v5, v4, s52                                // 000000006B10: D1ED002F 00D20905
	v_cmp_u_f32_e64 s[46:47], v52, v52                         // 000000006B18: D048002E 00026934
	v_add3_u32 v16, v52, v19, 1                                // 000000006B20: D1FF0010 02062734
	v_cndmask_b32_e64 v4, v16, v18, s[46:47]                   // 000000006B28: D1000004 00BA2510
	v_cmp_u_f32_e64 s[46:47], v53, v53                         // 000000006B30: D048002E 00026B35
	v_add3_u32 v16, v53, v19, 1                                // 000000006B38: D1FF0010 02062735
	v_cndmask_b32_e64 v5, v16, v18, s[46:47]                   // 000000006B40: D1000005 00BA2510
	v_perm_b32 v48, v5, v4, s52                                // 000000006B48: D1ED0030 00D20905
	v_cmp_u_f32_e64 s[46:47], v54, v54                         // 000000006B50: D048002E 00026D36
	v_add3_u32 v16, v54, v19, 1                                // 000000006B58: D1FF0010 02062736
	v_cndmask_b32_e64 v4, v16, v18, s[46:47]                   // 000000006B60: D1000004 00BA2510
	v_cmp_u_f32_e64 s[46:47], v55, v55                         // 000000006B68: D048002E 00026F37
	v_add3_u32 v16, v55, v19, 1                                // 000000006B70: D1FF0010 02062737
	v_cndmask_b32_e64 v5, v16, v18, s[46:47]                   // 000000006B78: D1000005 00BA2510
	v_perm_b32 v49, v5, v4, s52                                // 000000006B80: D1ED0031 00D20905
	v_cmp_u_f32_e64 s[46:47], v56, v56                         // 000000006B88: D048002E 00027138
	v_add3_u32 v16, v56, v19, 1                                // 000000006B90: D1FF0010 02062738
	v_cndmask_b32_e64 v4, v16, v18, s[46:47]                   // 000000006B98: D1000004 00BA2510
	v_cmp_u_f32_e64 s[46:47], v57, v57                         // 000000006BA0: D048002E 00027339
	v_add3_u32 v16, v57, v19, 1                                // 000000006BA8: D1FF0010 02062739
	v_cndmask_b32_e64 v5, v16, v18, s[46:47]                   // 000000006BB0: D1000005 00BA2510
	v_perm_b32 v50, v5, v4, s52                                // 000000006BB8: D1ED0032 00D20905
	v_cmp_u_f32_e64 s[46:47], v58, v58                         // 000000006BC0: D048002E 0002753A
	v_add3_u32 v16, v58, v19, 1                                // 000000006BC8: D1FF0010 0206273A
	v_cndmask_b32_e64 v4, v16, v18, s[46:47]                   // 000000006BD0: D1000004 00BA2510
	v_cmp_u_f32_e64 s[46:47], v59, v59                         // 000000006BD8: D048002E 0002773B
	v_add3_u32 v16, v59, v19, 1                                // 000000006BE0: D1FF0010 0206273B
	v_cndmask_b32_e64 v5, v16, v18, s[46:47]                   // 000000006BE8: D1000005 00BA2510
	v_perm_b32 v51, v5, v4, s52                                // 000000006BF0: D1ED0033 00D20905
	v_cmp_u_f32_e64 s[46:47], v60, v60                         // 000000006BF8: D048002E 0002793C
	v_add3_u32 v16, v60, v19, 1                                // 000000006C00: D1FF0010 0206273C
	v_cndmask_b32_e64 v4, v16, v18, s[46:47]                   // 000000006C08: D1000004 00BA2510
	v_cmp_u_f32_e64 s[46:47], v61, v61                         // 000000006C10: D048002E 00027B3D
	v_add3_u32 v16, v61, v19, 1                                // 000000006C18: D1FF0010 0206273D
	v_cndmask_b32_e64 v5, v16, v18, s[46:47]                   // 000000006C20: D1000005 00BA2510
	v_perm_b32 v52, v5, v4, s52                                // 000000006C28: D1ED0034 00D20905
	v_cmp_u_f32_e64 s[46:47], v62, v62                         // 000000006C30: D048002E 00027D3E
	v_add3_u32 v16, v62, v19, 1                                // 000000006C38: D1FF0010 0206273E
	v_cndmask_b32_e64 v4, v16, v18, s[46:47]                   // 000000006C40: D1000004 00BA2510
	v_cmp_u_f32_e64 s[46:47], v63, v63                         // 000000006C48: D048002E 00027F3F
	v_add3_u32 v16, v63, v19, 1                                // 000000006C50: D1FF0010 0206273F
	v_cndmask_b32_e64 v5, v16, v18, s[46:47]                   // 000000006C58: D1000005 00BA2510
	v_perm_b32 v53, v5, v4, s52                                // 000000006C60: D1ED0035 00D20905
	v_cmp_u_f32_e64 s[46:47], v64, v64                         // 000000006C68: D048002E 00028140
	v_add3_u32 v16, v64, v19, 1                                // 000000006C70: D1FF0010 02062740
	v_cndmask_b32_e64 v4, v16, v18, s[46:47]                   // 000000006C78: D1000004 00BA2510
	v_cmp_u_f32_e64 s[46:47], v65, v65                         // 000000006C80: D048002E 00028341
	v_add3_u32 v16, v65, v19, 1                                // 000000006C88: D1FF0010 02062741
	v_cndmask_b32_e64 v5, v16, v18, s[46:47]                   // 000000006C90: D1000005 00BA2510
	v_perm_b32 v54, v5, v4, s52                                // 000000006C98: D1ED0036 00D20905
	v_cmp_u_f32_e64 s[46:47], v66, v66                         // 000000006CA0: D048002E 00028542
	v_add3_u32 v16, v66, v19, 1                                // 000000006CA8: D1FF0010 02062742
	v_cndmask_b32_e64 v4, v16, v18, s[46:47]                   // 000000006CB0: D1000004 00BA2510
	v_cmp_u_f32_e64 s[46:47], v67, v67                         // 000000006CB8: D048002E 00028743
	v_add3_u32 v16, v67, v19, 1                                // 000000006CC0: D1FF0010 02062743
	v_cndmask_b32_e64 v5, v16, v18, s[46:47]                   // 000000006CC8: D1000005 00BA2510
	v_perm_b32 v55, v5, v4, s52                                // 000000006CD0: D1ED0037 00D20905
	v_cmp_u_f32_e64 s[46:47], v68, v68                         // 000000006CD8: D048002E 00028944
	v_add3_u32 v16, v68, v19, 1                                // 000000006CE0: D1FF0010 02062744
	v_cndmask_b32_e64 v4, v16, v18, s[46:47]                   // 000000006CE8: D1000004 00BA2510
	v_cmp_u_f32_e64 s[46:47], v69, v69                         // 000000006CF0: D048002E 00028B45
	v_add3_u32 v16, v69, v19, 1                                // 000000006CF8: D1FF0010 02062745
	v_cndmask_b32_e64 v5, v16, v18, s[46:47]                   // 000000006D00: D1000005 00BA2510
	v_perm_b32 v56, v5, v4, s52                                // 000000006D08: D1ED0038 00D20905
	v_cmp_u_f32_e64 s[46:47], v70, v70                         // 000000006D10: D048002E 00028D46
	v_add3_u32 v16, v70, v19, 1                                // 000000006D18: D1FF0010 02062746
	v_cndmask_b32_e64 v4, v16, v18, s[46:47]                   // 000000006D20: D1000004 00BA2510
	v_cmp_u_f32_e64 s[46:47], v71, v71                         // 000000006D28: D048002E 00028F47
	v_add3_u32 v16, v71, v19, 1                                // 000000006D30: D1FF0010 02062747
	v_cndmask_b32_e64 v5, v16, v18, s[46:47]                   // 000000006D38: D1000005 00BA2510
	v_perm_b32 v57, v5, v4, s52                                // 000000006D40: D1ED0039 00D20905
	v_cmp_u_f32_e64 s[46:47], v72, v72                         // 000000006D48: D048002E 00029148
	v_add3_u32 v16, v72, v19, 1                                // 000000006D50: D1FF0010 02062748
	v_cndmask_b32_e64 v4, v16, v18, s[46:47]                   // 000000006D58: D1000004 00BA2510
	v_cmp_u_f32_e64 s[46:47], v73, v73                         // 000000006D60: D048002E 00029349
	v_add3_u32 v16, v73, v19, 1                                // 000000006D68: D1FF0010 02062749
	v_cndmask_b32_e64 v5, v16, v18, s[46:47]                   // 000000006D70: D1000005 00BA2510
	v_perm_b32 v58, v5, v4, s52                                // 000000006D78: D1ED003A 00D20905
	v_cmp_u_f32_e64 s[46:47], v74, v74                         // 000000006D80: D048002E 0002954A
	v_add3_u32 v16, v74, v19, 1                                // 000000006D88: D1FF0010 0206274A
	v_cndmask_b32_e64 v4, v16, v18, s[46:47]                   // 000000006D90: D1000004 00BA2510
	v_cmp_u_f32_e64 s[46:47], v75, v75                         // 000000006D98: D048002E 0002974B
	v_add3_u32 v16, v75, v19, 1                                // 000000006DA0: D1FF0010 0206274B
	v_cndmask_b32_e64 v5, v16, v18, s[46:47]                   // 000000006DA8: D1000005 00BA2510
	v_perm_b32 v59, v5, v4, s52                                // 000000006DB0: D1ED003B 00D20905
	ds_write_b64 v20, v[44:45]                                 // 000000006DB8: D89A0000 00002C14
	ds_write_b64 v20, v[46:47] offset:8704                     // 000000006DC0: D89A2200 00002E14
	ds_write_b64 v20, v[48:49] offset:2176                     // 000000006DC8: D89A0880 00003014
	ds_write_b64 v20, v[50:51] offset:10880                    // 000000006DD0: D89A2A80 00003214
	ds_write_b64 v20, v[52:53] offset:4352                     // 000000006DD8: D89A1100 00003414
	ds_write_b64 v20, v[54:55] offset:13056                    // 000000006DE0: D89A3300 00003614
	ds_write_b64 v20, v[56:57] offset:6528                     // 000000006DE8: D89A1980 00003814
	ds_write_b64 v20, v[58:59] offset:15232                    // 000000006DF0: D89A3B80 00003A14
	v_lshrrev_b32_e32 v4, 5, v0                                // 000000006DF8: 20080085
	v_xor_b32_e32 v5, 1, v4                                    // 000000006DFC: 2A0A0881
	s_mul_i32 s60, s65, 2                                      // 000000006E00: 923C8241
	s_cmp_eq_u32 s88, 0                                        // 000000006E04: BF068058
	s_cselect_b32 s61, 1, 4                                    // 000000006E08: 853D8481
	s_mul_i32 s60, s61, s60                                    // 000000006E0C: 923C3C3D
	v_readlane_b32 s82, v3, 0                                  // 000000006E10: D2890052 00010103
	s_lshr_b32 s61, s82, 24                                    // 000000006E18: 8F3D9852
	s_and_b32 s82, s82, 0xffffff                               // 000000006E1C: 8652FF52 00FFFFFF
	s_mul_i32 s82, s82, s71                                    // 000000006E24: 92524752
	s_mul_i32 s61, s60, s61                                    // 000000006E28: 923D3D3C
	s_add_u32 s82, s82, s61                                    // 000000006E2C: 80523D52
	v_mul_lo_u32 v6, v5, s82                                   // 000000006E30: D2850006 0000A505
	v_readlane_b32 s82, v3, 1                                  // 000000006E38: D2890052 00010303
	s_lshr_b32 s61, s82, 24                                    // 000000006E40: 8F3D9852
	s_and_b32 s82, s82, 0xffffff                               // 000000006E44: 8652FF52 00FFFFFF
	s_mul_i32 s82, s82, s71                                    // 000000006E4C: 92524752
	s_mul_i32 s61, s60, s61                                    // 000000006E50: 923D3D3C
	s_add_u32 s82, s82, s61                                    // 000000006E54: 80523D52
	v_mul_lo_u32 v7, v4, s82                                   // 000000006E58: D2850007 0000A504
	v_add_u32_e32 v36, v6, v7                                  // 000000006E60: 68480F06
	v_readlane_b32 s82, v3, 2                                  // 000000006E64: D2890052 00010503
	s_lshr_b32 s61, s82, 24                                    // 000000006E6C: 8F3D9852
	s_and_b32 s82, s82, 0xffffff                               // 000000006E70: 8652FF52 00FFFFFF
	s_mul_i32 s82, s82, s71                                    // 000000006E78: 92524752
	s_mul_i32 s61, s60, s61                                    // 000000006E7C: 923D3D3C
	s_add_u32 s82, s82, s61                                    // 000000006E80: 80523D52
	v_mul_lo_u32 v6, v5, s82                                   // 000000006E84: D2850006 0000A505
	v_readlane_b32 s82, v3, 3                                  // 000000006E8C: D2890052 00010703
	s_lshr_b32 s61, s82, 24                                    // 000000006E94: 8F3D9852
	s_and_b32 s82, s82, 0xffffff                               // 000000006E98: 8652FF52 00FFFFFF
	s_mul_i32 s82, s82, s71                                    // 000000006EA0: 92524752
	s_mul_i32 s61, s60, s61                                    // 000000006EA4: 923D3D3C
	s_add_u32 s82, s82, s61                                    // 000000006EA8: 80523D52
	v_mul_lo_u32 v7, v4, s82                                   // 000000006EAC: D2850007 0000A504
	v_add_u32_e32 v37, v6, v7                                  // 000000006EB4: 684A0F06
	v_readlane_b32 s82, v3, 4                                  // 000000006EB8: D2890052 00010903
	s_lshr_b32 s61, s82, 24                                    // 000000006EC0: 8F3D9852
	s_and_b32 s82, s82, 0xffffff                               // 000000006EC4: 8652FF52 00FFFFFF
	s_mul_i32 s82, s82, s71                                    // 000000006ECC: 92524752
	s_mul_i32 s61, s60, s61                                    // 000000006ED0: 923D3D3C
	s_add_u32 s82, s82, s61                                    // 000000006ED4: 80523D52
	v_mul_lo_u32 v6, v5, s82                                   // 000000006ED8: D2850006 0000A505
	v_readlane_b32 s82, v3, 5                                  // 000000006EE0: D2890052 00010B03
	s_lshr_b32 s61, s82, 24                                    // 000000006EE8: 8F3D9852
	s_and_b32 s82, s82, 0xffffff                               // 000000006EEC: 8652FF52 00FFFFFF
	s_mul_i32 s82, s82, s71                                    // 000000006EF4: 92524752
	s_mul_i32 s61, s60, s61                                    // 000000006EF8: 923D3D3C
	s_add_u32 s82, s82, s61                                    // 000000006EFC: 80523D52
	v_mul_lo_u32 v7, v4, s82                                   // 000000006F00: D2850007 0000A504
	v_add_u32_e32 v38, v6, v7                                  // 000000006F08: 684C0F06
	v_readlane_b32 s82, v3, 6                                  // 000000006F0C: D2890052 00010D03
	s_lshr_b32 s61, s82, 24                                    // 000000006F14: 8F3D9852
	s_and_b32 s82, s82, 0xffffff                               // 000000006F18: 8652FF52 00FFFFFF
	s_mul_i32 s82, s82, s71                                    // 000000006F20: 92524752
	s_mul_i32 s61, s60, s61                                    // 000000006F24: 923D3D3C
	s_add_u32 s82, s82, s61                                    // 000000006F28: 80523D52
	v_mul_lo_u32 v6, v5, s82                                   // 000000006F2C: D2850006 0000A505
	v_readlane_b32 s82, v3, 7                                  // 000000006F34: D2890052 00010F03
	s_lshr_b32 s61, s82, 24                                    // 000000006F3C: 8F3D9852
	s_and_b32 s82, s82, 0xffffff                               // 000000006F40: 8652FF52 00FFFFFF
	s_mul_i32 s82, s82, s71                                    // 000000006F48: 92524752
	s_mul_i32 s61, s60, s61                                    // 000000006F4C: 923D3D3C
	s_add_u32 s82, s82, s61                                    // 000000006F50: 80523D52
	v_mul_lo_u32 v7, v4, s82                                   // 000000006F54: D2850007 0000A504
	v_add_u32_e32 v39, v6, v7                                  // 000000006F5C: 684E0F06
	v_and_b32_e32 v4, 31, v0                                   // 000000006F60: 2608009F
	v_lshrrev_b32_e32 v4, 1, v4                                // 000000006F64: 20080881
	s_cmp_eq_u32 s88, 0                                        // 000000006F68: BF068058
	s_cselect_b32 s61, 2, 4                                    // 000000006F6C: 853D8482
	v_mul_lo_u32 v4, v4, s61                                   // 000000006F70: D2850004 00007B04
	v_and_b32_e64 v5, v0, 1                                    // 000000006F78: D1130005 00010300
	v_add_u32_e32 v4, v4, v5                                   // 000000006F80: 68080B04
	v_lshlrev_b32_e32 v4, 2, v4                                // 000000006F84: 24080882
	v_add_u32_e32 v36, v36, v4                                 // 000000006F88: 68480924
	v_add_u32_e32 v37, v37, v4                                 // 000000006F8C: 684A0925
	v_add_u32_e32 v38, v38, v4                                 // 000000006F90: 684C0926
	v_add_u32_e32 v39, v39, v4                                 // 000000006F94: 684E0927
	s_waitcnt lgkmcnt(0)                                       // 000000006F98: BF8CC07F
	s_barrier                                                  // 000000006F9C: BF8A0000
	ds_read_b32 v44, v21                                       // 000000006FA0: D86C0000 2C000015
	ds_read_b32 v45, v21 offset:64                             // 000000006FA8: D86C0040 2D000015
	ds_read_b32 v46, v21 offset:2176                           // 000000006FB0: D86C0880 2E000015
	ds_read_b32 v47, v21 offset:2240                           // 000000006FB8: D86C08C0 2F000015
	ds_read_b32 v48, v21 offset:4352                           // 000000006FC0: D86C1100 30000015
	ds_read_b32 v49, v21 offset:4416                           // 000000006FC8: D86C1140 31000015
	ds_read_b32 v50, v21 offset:6528                           // 000000006FD0: D86C1980 32000015
	ds_read_b32 v51, v21 offset:6592                           // 000000006FD8: D86C19C0 33000015
	ds_read_b32 v52, v21 offset:8704                           // 000000006FE0: D86C2200 34000015
	ds_read_b32 v53, v21 offset:8768                           // 000000006FE8: D86C2240 35000015
	ds_read_b32 v54, v21 offset:10880                          // 000000006FF0: D86C2A80 36000015
	ds_read_b32 v55, v21 offset:10944                          // 000000006FF8: D86C2AC0 37000015
	ds_read_b32 v56, v21 offset:13056                          // 000000007000: D86C3300 38000015
	ds_read_b32 v57, v21 offset:13120                          // 000000007008: D86C3340 39000015
	ds_read_b32 v58, v21 offset:15232                          // 000000007010: D86C3B80 3A000015
	ds_read_b32 v59, v21 offset:15296                          // 000000007018: D86C3BC0 3B000015
	s_waitcnt lgkmcnt(0)                                       // 000000007020: BF8CC07F
	s_mov_b32 s36, -1                                          // 000000007024: BEA400C1
	s_mov_b32 s37, -1                                          // 000000007028: BEA500C1
	v_mov_b32_e32 v7, 0                                        // 00000000702C: 7E0E0280
	s_or_b32 s9, s9, 0x40000                                   // 000000007030: 8709FF09 00040000
	s_mov_b64 exec, s[36:37]                                   // 000000007038: BEFE0124
	v_mov_b32_e32 v6, v36                                      // 00000000703C: 7E0C0324
	s_mov_b64 s[60:61], 0                                      // 000000007040: BEBC0180
	v_readlane_b32 s82, v3, 0                                  // 000000007044: D2890052 00010103
	s_and_b32 s82, s82, 0xffffff                               // 00000000704C: 8652FF52 00FFFFFF
	s_cmp_lt_u32 s82, s66                                      // 000000007054: BF0A4252
	s_cselect_b32 s20, s36, s60                                // 000000007058: 85143C24
	v_readlane_b32 s82, v3, 1                                  // 00000000705C: D2890052 00010303
	s_and_b32 s82, s82, 0xffffff                               // 000000007064: 8652FF52 00FFFFFF
	s_cmp_lt_u32 s82, s66                                      // 00000000706C: BF0A4252
	s_cselect_b32 s21, s36, s60                                // 000000007070: 85153C24
	s_mov_b64 exec, s[20:21]                                   // 000000007074: BEFE0114
	buffer_store_dword v44, v6, s[8:11], 0 offen               // 000000007078: E0701000 80022C06
	buffer_store_dword v46, v6, s[8:11], 0 offen offset:128    // 000000007080: E0701080 80022E06
	buffer_store_dword v48, v6, s[8:11], 0 offen offset:256    // 000000007088: E0701100 80023006
	buffer_store_dword v50, v6, s[8:11], 0 offen offset:384    // 000000007090: E0701180 80023206
	s_mov_b64 exec, s[36:37]                                   // 000000007098: BEFE0124
	v_mov_b32_e32 v6, v37                                      // 00000000709C: 7E0C0325
	s_mov_b64 s[60:61], 0                                      // 0000000070A0: BEBC0180
	v_readlane_b32 s82, v3, 2                                  // 0000000070A4: D2890052 00010503
	s_and_b32 s82, s82, 0xffffff                               // 0000000070AC: 8652FF52 00FFFFFF
	s_cmp_lt_u32 s82, s66                                      // 0000000070B4: BF0A4252
	s_cselect_b32 s20, s36, s60                                // 0000000070B8: 85143C24
	v_readlane_b32 s82, v3, 3                                  // 0000000070BC: D2890052 00010703
	s_and_b32 s82, s82, 0xffffff                               // 0000000070C4: 8652FF52 00FFFFFF
	s_cmp_lt_u32 s82, s66                                      // 0000000070CC: BF0A4252
	s_cselect_b32 s21, s36, s60                                // 0000000070D0: 85153C24
	s_mov_b64 exec, s[20:21]                                   // 0000000070D4: BEFE0114
	buffer_store_dword v45, v6, s[8:11], 0 offen               // 0000000070D8: E0701000 80022D06
	buffer_store_dword v47, v6, s[8:11], 0 offen offset:128    // 0000000070E0: E0701080 80022F06
	buffer_store_dword v49, v6, s[8:11], 0 offen offset:256    // 0000000070E8: E0701100 80023106
	buffer_store_dword v51, v6, s[8:11], 0 offen offset:384    // 0000000070F0: E0701180 80023306
	s_mov_b64 exec, s[36:37]                                   // 0000000070F8: BEFE0124
	v_mov_b32_e32 v6, v38                                      // 0000000070FC: 7E0C0326
	s_mov_b64 s[60:61], 0                                      // 000000007100: BEBC0180
	v_readlane_b32 s82, v3, 4                                  // 000000007104: D2890052 00010903
	s_and_b32 s82, s82, 0xffffff                               // 00000000710C: 8652FF52 00FFFFFF
	s_cmp_lt_u32 s82, s66                                      // 000000007114: BF0A4252
	s_cselect_b32 s20, s36, s60                                // 000000007118: 85143C24
	v_readlane_b32 s82, v3, 5                                  // 00000000711C: D2890052 00010B03
	s_and_b32 s82, s82, 0xffffff                               // 000000007124: 8652FF52 00FFFFFF
	s_cmp_lt_u32 s82, s66                                      // 00000000712C: BF0A4252
	s_cselect_b32 s21, s36, s60                                // 000000007130: 85153C24
	s_mov_b64 exec, s[20:21]                                   // 000000007134: BEFE0114
	buffer_store_dword v52, v6, s[8:11], 0 offen               // 000000007138: E0701000 80023406
	buffer_store_dword v54, v6, s[8:11], 0 offen offset:128    // 000000007140: E0701080 80023606
	buffer_store_dword v56, v6, s[8:11], 0 offen offset:256    // 000000007148: E0701100 80023806
	buffer_store_dword v58, v6, s[8:11], 0 offen offset:384    // 000000007150: E0701180 80023A06
	s_mov_b64 exec, s[36:37]                                   // 000000007158: BEFE0124
	v_mov_b32_e32 v6, v39                                      // 00000000715C: 7E0C0327
	s_mov_b64 s[60:61], 0                                      // 000000007160: BEBC0180
	v_readlane_b32 s82, v3, 6                                  // 000000007164: D2890052 00010D03
	s_and_b32 s82, s82, 0xffffff                               // 00000000716C: 8652FF52 00FFFFFF
	s_cmp_lt_u32 s82, s66                                      // 000000007174: BF0A4252
	s_cselect_b32 s20, s36, s60                                // 000000007178: 85143C24
	v_readlane_b32 s82, v3, 7                                  // 00000000717C: D2890052 00010F03
	s_and_b32 s82, s82, 0xffffff                               // 000000007184: 8652FF52 00FFFFFF
	s_cmp_lt_u32 s82, s66                                      // 00000000718C: BF0A4252
	s_cselect_b32 s21, s36, s60                                // 000000007190: 85153C24
	s_mov_b64 exec, s[20:21]                                   // 000000007194: BEFE0114
	buffer_store_dword v53, v6, s[8:11], 0 offen               // 000000007198: E0701000 80023506
	buffer_store_dword v55, v6, s[8:11], 0 offen offset:128    // 0000000071A0: E0701080 80023706
	buffer_store_dword v57, v6, s[8:11], 0 offen offset:256    // 0000000071A8: E0701100 80023906
	buffer_store_dword v59, v6, s[8:11], 0 offen offset:384    // 0000000071B0: E0701180 80023B06
	s_mov_b64 exec, s[36:37]                                   // 0000000071B8: BEFE0124
	s_branch label_14B5                                        // 0000000071BC: BF8202C2

00000000000071c0 <label_11F3>:
	ds_write_b64 v20, v[44:45]                                 // 0000000071C0: D89A0000 00002C14
	ds_write_b64 v20, v[48:49] offset:8704                     // 0000000071C8: D89A2200 00003014
	ds_write_b64 v20, v[52:53] offset:2176                     // 0000000071D0: D89A0880 00003414
	ds_write_b64 v20, v[56:57] offset:10880                    // 0000000071D8: D89A2A80 00003814
	ds_write_b64 v20, v[60:61] offset:4352                     // 0000000071E0: D89A1100 00003C14
	ds_write_b64 v20, v[64:65] offset:13056                    // 0000000071E8: D89A3300 00004014
	ds_write_b64 v20, v[68:69] offset:6528                     // 0000000071F0: D89A1980 00004414
	ds_write_b64 v20, v[72:73] offset:15232                    // 0000000071F8: D89A3B80 00004814
	v_lshrrev_b32_e32 v4, 5, v0                                // 000000007200: 20080085
	v_xor_b32_e32 v5, 1, v4                                    // 000000007204: 2A0A0881
	s_mul_i32 s60, s65, 2                                      // 000000007208: 923C8241
	s_cmp_eq_u32 s88, 0                                        // 00000000720C: BF068058
	s_cselect_b32 s61, 1, 4                                    // 000000007210: 853D8481
	s_mul_i32 s60, s61, s60                                    // 000000007214: 923C3C3D
	v_readlane_b32 s82, v3, 0                                  // 000000007218: D2890052 00010103
	s_lshr_b32 s61, s82, 24                                    // 000000007220: 8F3D9852
	s_and_b32 s82, s82, 0xffffff                               // 000000007224: 8652FF52 00FFFFFF
	s_mul_i32 s82, s82, s71                                    // 00000000722C: 92524752
	s_mul_i32 s61, s60, s61                                    // 000000007230: 923D3D3C
	s_add_u32 s82, s82, s61                                    // 000000007234: 80523D52
	v_mul_lo_u32 v6, v5, s82                                   // 000000007238: D2850006 0000A505
	v_readlane_b32 s82, v3, 1                                  // 000000007240: D2890052 00010303
	s_lshr_b32 s61, s82, 24                                    // 000000007248: 8F3D9852
	s_and_b32 s82, s82, 0xffffff                               // 00000000724C: 8652FF52 00FFFFFF
	s_mul_i32 s82, s82, s71                                    // 000000007254: 92524752
	s_mul_i32 s61, s60, s61                                    // 000000007258: 923D3D3C
	s_add_u32 s82, s82, s61                                    // 00000000725C: 80523D52
	v_mul_lo_u32 v7, v4, s82                                   // 000000007260: D2850007 0000A504
	v_add_u32_e32 v36, v6, v7                                  // 000000007268: 68480F06
	v_readlane_b32 s82, v3, 2                                  // 00000000726C: D2890052 00010503
	s_lshr_b32 s61, s82, 24                                    // 000000007274: 8F3D9852
	s_and_b32 s82, s82, 0xffffff                               // 000000007278: 8652FF52 00FFFFFF
	s_mul_i32 s82, s82, s71                                    // 000000007280: 92524752
	s_mul_i32 s61, s60, s61                                    // 000000007284: 923D3D3C
	s_add_u32 s82, s82, s61                                    // 000000007288: 80523D52
	v_mul_lo_u32 v6, v5, s82                                   // 00000000728C: D2850006 0000A505
	v_readlane_b32 s82, v3, 3                                  // 000000007294: D2890052 00010703
	s_lshr_b32 s61, s82, 24                                    // 00000000729C: 8F3D9852
	s_and_b32 s82, s82, 0xffffff                               // 0000000072A0: 8652FF52 00FFFFFF
	s_mul_i32 s82, s82, s71                                    // 0000000072A8: 92524752
	s_mul_i32 s61, s60, s61                                    // 0000000072AC: 923D3D3C
	s_add_u32 s82, s82, s61                                    // 0000000072B0: 80523D52
	v_mul_lo_u32 v7, v4, s82                                   // 0000000072B4: D2850007 0000A504
	v_add_u32_e32 v37, v6, v7                                  // 0000000072BC: 684A0F06
	v_readlane_b32 s82, v3, 4                                  // 0000000072C0: D2890052 00010903
	s_lshr_b32 s61, s82, 24                                    // 0000000072C8: 8F3D9852
	s_and_b32 s82, s82, 0xffffff                               // 0000000072CC: 8652FF52 00FFFFFF
	s_mul_i32 s82, s82, s71                                    // 0000000072D4: 92524752
	s_mul_i32 s61, s60, s61                                    // 0000000072D8: 923D3D3C
	s_add_u32 s82, s82, s61                                    // 0000000072DC: 80523D52
	v_mul_lo_u32 v6, v5, s82                                   // 0000000072E0: D2850006 0000A505
	v_readlane_b32 s82, v3, 5                                  // 0000000072E8: D2890052 00010B03
	s_lshr_b32 s61, s82, 24                                    // 0000000072F0: 8F3D9852
	s_and_b32 s82, s82, 0xffffff                               // 0000000072F4: 8652FF52 00FFFFFF
	s_mul_i32 s82, s82, s71                                    // 0000000072FC: 92524752
	s_mul_i32 s61, s60, s61                                    // 000000007300: 923D3D3C
	s_add_u32 s82, s82, s61                                    // 000000007304: 80523D52
	v_mul_lo_u32 v7, v4, s82                                   // 000000007308: D2850007 0000A504
	v_add_u32_e32 v38, v6, v7                                  // 000000007310: 684C0F06
	v_readlane_b32 s82, v3, 6                                  // 000000007314: D2890052 00010D03
	s_lshr_b32 s61, s82, 24                                    // 00000000731C: 8F3D9852
	s_and_b32 s82, s82, 0xffffff                               // 000000007320: 8652FF52 00FFFFFF
	s_mul_i32 s82, s82, s71                                    // 000000007328: 92524752
	s_mul_i32 s61, s60, s61                                    // 00000000732C: 923D3D3C
	s_add_u32 s82, s82, s61                                    // 000000007330: 80523D52
	v_mul_lo_u32 v6, v5, s82                                   // 000000007334: D2850006 0000A505
	v_readlane_b32 s82, v3, 7                                  // 00000000733C: D2890052 00010F03
	s_lshr_b32 s61, s82, 24                                    // 000000007344: 8F3D9852
	s_and_b32 s82, s82, 0xffffff                               // 000000007348: 8652FF52 00FFFFFF
	s_mul_i32 s82, s82, s71                                    // 000000007350: 92524752
	s_mul_i32 s61, s60, s61                                    // 000000007354: 923D3D3C
	s_add_u32 s82, s82, s61                                    // 000000007358: 80523D52
	v_mul_lo_u32 v7, v4, s82                                   // 00000000735C: D2850007 0000A504
	v_add_u32_e32 v39, v6, v7                                  // 000000007364: 684E0F06
	v_and_b32_e32 v4, 31, v0                                   // 000000007368: 2608009F
	v_lshrrev_b32_e32 v4, 1, v4                                // 00000000736C: 20080881
	s_cmp_eq_u32 s88, 0                                        // 000000007370: BF068058
	s_cselect_b32 s61, 2, 4                                    // 000000007374: 853D8482
	v_mul_lo_u32 v4, v4, s61                                   // 000000007378: D2850004 00007B04
	v_and_b32_e64 v5, v0, 1                                    // 000000007380: D1130005 00010300
	v_add_u32_e32 v4, v4, v5                                   // 000000007388: 68080B04
	v_lshlrev_b32_e32 v4, 2, v4                                // 00000000738C: 24080882
	v_add_u32_e32 v36, v36, v4                                 // 000000007390: 68480924
	v_add_u32_e32 v37, v37, v4                                 // 000000007394: 684A0925
	v_add_u32_e32 v38, v38, v4                                 // 000000007398: 684C0926
	v_add_u32_e32 v39, v39, v4                                 // 00000000739C: 684E0927
	s_waitcnt lgkmcnt(0)                                       // 0000000073A0: BF8CC07F
	s_barrier                                                  // 0000000073A4: BF8A0000
	ds_read_b32 v44, v21                                       // 0000000073A8: D86C0000 2C000015
	ds_read_b32 v45, v21 offset:64                             // 0000000073B0: D86C0040 2D000015
	ds_read_b32 v48, v21 offset:2176                           // 0000000073B8: D86C0880 30000015
	ds_read_b32 v49, v21 offset:2240                           // 0000000073C0: D86C08C0 31000015
	ds_read_b32 v52, v21 offset:4352                           // 0000000073C8: D86C1100 34000015
	ds_read_b32 v53, v21 offset:4416                           // 0000000073D0: D86C1140 35000015
	ds_read_b32 v56, v21 offset:6528                           // 0000000073D8: D86C1980 38000015
	ds_read_b32 v57, v21 offset:6592                           // 0000000073E0: D86C19C0 39000015
	ds_read_b32 v60, v21 offset:8704                           // 0000000073E8: D86C2200 3C000015
	ds_read_b32 v61, v21 offset:8768                           // 0000000073F0: D86C2240 3D000015
	ds_read_b32 v64, v21 offset:10880                          // 0000000073F8: D86C2A80 40000015
	ds_read_b32 v65, v21 offset:10944                          // 000000007400: D86C2AC0 41000015
	ds_read_b32 v68, v21 offset:13056                          // 000000007408: D86C3300 44000015
	ds_read_b32 v69, v21 offset:13120                          // 000000007410: D86C3340 45000015
	ds_read_b32 v72, v21 offset:15232                          // 000000007418: D86C3B80 48000015
	ds_read_b32 v73, v21 offset:15296                          // 000000007420: D86C3BC0 49000015
	s_waitcnt lgkmcnt(0)                                       // 000000007428: BF8CC07F
	s_mov_b32 s36, -1                                          // 00000000742C: BEA400C1
	s_mov_b32 s37, -1                                          // 000000007430: BEA500C1
	v_mov_b32_e32 v7, 0                                        // 000000007434: 7E0E0280
	s_mov_b64 exec, s[36:37]                                   // 000000007438: BEFE0124
	v_mov_b32_e32 v6, v36                                      // 00000000743C: 7E0C0324
	s_mov_b64 s[60:61], 0                                      // 000000007440: BEBC0180
	v_readlane_b32 s82, v3, 0                                  // 000000007444: D2890052 00010103
	s_and_b32 s82, s82, 0xffffff                               // 00000000744C: 8652FF52 00FFFFFF
	s_cmp_lt_u32 s82, s66                                      // 000000007454: BF0A4252
	s_cselect_b32 s20, s36, s60                                // 000000007458: 85143C24
	v_readlane_b32 s82, v3, 1                                  // 00000000745C: D2890052 00010303
	s_and_b32 s82, s82, 0xffffff                               // 000000007464: 8652FF52 00FFFFFF
	s_cmp_lt_u32 s82, s66                                      // 00000000746C: BF0A4252
	s_cselect_b32 s21, s36, s60                                // 000000007470: 85153C24
	s_mov_b64 exec, s[20:21]                                   // 000000007474: BEFE0114
	global_atomic_add_f32 v6, v44, s[8:9]                      // 000000007478: DD348000 00082C06
	global_atomic_add_f32 v6, v48, s[8:9] offset:256           // 000000007480: DD348100 00083006
	global_atomic_add_f32 v6, v52, s[8:9] offset:512           // 000000007488: DD348200 00083406
	global_atomic_add_f32 v6, v56, s[8:9] offset:768           // 000000007490: DD348300 00083806
	s_mov_b64 exec, s[36:37]                                   // 000000007498: BEFE0124
	v_mov_b32_e32 v6, v37                                      // 00000000749C: 7E0C0325
	s_mov_b64 s[60:61], 0                                      // 0000000074A0: BEBC0180
	v_readlane_b32 s82, v3, 2                                  // 0000000074A4: D2890052 00010503
	s_and_b32 s82, s82, 0xffffff                               // 0000000074AC: 8652FF52 00FFFFFF
	s_cmp_lt_u32 s82, s66                                      // 0000000074B4: BF0A4252
	s_cselect_b32 s20, s36, s60                                // 0000000074B8: 85143C24
	v_readlane_b32 s82, v3, 3                                  // 0000000074BC: D2890052 00010703
	s_and_b32 s82, s82, 0xffffff                               // 0000000074C4: 8652FF52 00FFFFFF
	s_cmp_lt_u32 s82, s66                                      // 0000000074CC: BF0A4252
	s_cselect_b32 s21, s36, s60                                // 0000000074D0: 85153C24
	s_mov_b64 exec, s[20:21]                                   // 0000000074D4: BEFE0114
	global_atomic_add_f32 v6, v45, s[8:9]                      // 0000000074D8: DD348000 00082D06
	global_atomic_add_f32 v6, v49, s[8:9] offset:256           // 0000000074E0: DD348100 00083106
	global_atomic_add_f32 v6, v53, s[8:9] offset:512           // 0000000074E8: DD348200 00083506
	global_atomic_add_f32 v6, v57, s[8:9] offset:768           // 0000000074F0: DD348300 00083906
	s_mov_b64 exec, s[36:37]                                   // 0000000074F8: BEFE0124
	v_mov_b32_e32 v6, v38                                      // 0000000074FC: 7E0C0326
	s_mov_b64 s[60:61], 0                                      // 000000007500: BEBC0180
	v_readlane_b32 s82, v3, 4                                  // 000000007504: D2890052 00010903
	s_and_b32 s82, s82, 0xffffff                               // 00000000750C: 8652FF52 00FFFFFF
	s_cmp_lt_u32 s82, s66                                      // 000000007514: BF0A4252
	s_cselect_b32 s20, s36, s60                                // 000000007518: 85143C24
	v_readlane_b32 s82, v3, 5                                  // 00000000751C: D2890052 00010B03
	s_and_b32 s82, s82, 0xffffff                               // 000000007524: 8652FF52 00FFFFFF
	s_cmp_lt_u32 s82, s66                                      // 00000000752C: BF0A4252
	s_cselect_b32 s21, s36, s60                                // 000000007530: 85153C24
	s_mov_b64 exec, s[20:21]                                   // 000000007534: BEFE0114
	global_atomic_add_f32 v6, v60, s[8:9]                      // 000000007538: DD348000 00083C06
	global_atomic_add_f32 v6, v64, s[8:9] offset:256           // 000000007540: DD348100 00084006
	global_atomic_add_f32 v6, v68, s[8:9] offset:512           // 000000007548: DD348200 00084406
	global_atomic_add_f32 v6, v72, s[8:9] offset:768           // 000000007550: DD348300 00084806
	s_mov_b64 exec, s[36:37]                                   // 000000007558: BEFE0124
	v_mov_b32_e32 v6, v39                                      // 00000000755C: 7E0C0327
	s_mov_b64 s[60:61], 0                                      // 000000007560: BEBC0180
	v_readlane_b32 s82, v3, 6                                  // 000000007564: D2890052 00010D03
	s_and_b32 s82, s82, 0xffffff                               // 00000000756C: 8652FF52 00FFFFFF
	s_cmp_lt_u32 s82, s66                                      // 000000007574: BF0A4252
	s_cselect_b32 s20, s36, s60                                // 000000007578: 85143C24
	v_readlane_b32 s82, v3, 7                                  // 00000000757C: D2890052 00010F03
	s_and_b32 s82, s82, 0xffffff                               // 000000007584: 8652FF52 00FFFFFF
	s_cmp_lt_u32 s82, s66                                      // 00000000758C: BF0A4252
	s_cselect_b32 s21, s36, s60                                // 000000007590: 85153C24
	s_mov_b64 exec, s[20:21]                                   // 000000007594: BEFE0114
	global_atomic_add_f32 v6, v61, s[8:9]                      // 000000007598: DD348000 00083D06
	global_atomic_add_f32 v6, v65, s[8:9] offset:256           // 0000000075A0: DD348100 00084106
	global_atomic_add_f32 v6, v69, s[8:9] offset:512           // 0000000075A8: DD348200 00084506
	global_atomic_add_f32 v6, v73, s[8:9] offset:768           // 0000000075B0: DD348300 00084906
	s_mov_b64 exec, s[36:37]                                   // 0000000075B8: BEFE0124
	ds_write_b64 v20, v[46:47]                                 // 0000000075BC: D89A0000 00002E14
	ds_write_b64 v20, v[50:51] offset:8704                     // 0000000075C4: D89A2200 00003214
	ds_write_b64 v20, v[54:55] offset:2176                     // 0000000075CC: D89A0880 00003614
	ds_write_b64 v20, v[58:59] offset:10880                    // 0000000075D4: D89A2A80 00003A14
	ds_write_b64 v20, v[62:63] offset:4352                     // 0000000075DC: D89A1100 00003E14
	ds_write_b64 v20, v[66:67] offset:13056                    // 0000000075E4: D89A3300 00004214
	ds_write_b64 v20, v[70:71] offset:6528                     // 0000000075EC: D89A1980 00004614
	ds_write_b64 v20, v[74:75] offset:15232                    // 0000000075F4: D89A3B80 00004A14
	s_waitcnt lgkmcnt(0)                                       // 0000000075FC: BF8CC07F
	s_barrier                                                  // 000000007600: BF8A0000
	ds_read_b32 v46, v21                                       // 000000007604: D86C0000 2E000015
	ds_read_b32 v47, v21 offset:64                             // 00000000760C: D86C0040 2F000015
	ds_read_b32 v50, v21 offset:2176                           // 000000007614: D86C0880 32000015
	ds_read_b32 v51, v21 offset:2240                           // 00000000761C: D86C08C0 33000015
	ds_read_b32 v54, v21 offset:4352                           // 000000007624: D86C1100 36000015
	ds_read_b32 v55, v21 offset:4416                           // 00000000762C: D86C1140 37000015
	ds_read_b32 v58, v21 offset:6528                           // 000000007634: D86C1980 3A000015
	ds_read_b32 v59, v21 offset:6592                           // 00000000763C: D86C19C0 3B000015
	ds_read_b32 v62, v21 offset:8704                           // 000000007644: D86C2200 3E000015
	ds_read_b32 v63, v21 offset:8768                           // 00000000764C: D86C2240 3F000015
	ds_read_b32 v66, v21 offset:10880                          // 000000007654: D86C2A80 42000015
	ds_read_b32 v67, v21 offset:10944                          // 00000000765C: D86C2AC0 43000015
	ds_read_b32 v70, v21 offset:13056                          // 000000007664: D86C3300 46000015
	ds_read_b32 v71, v21 offset:13120                          // 00000000766C: D86C3340 47000015
	ds_read_b32 v74, v21 offset:15232                          // 000000007674: D86C3B80 4A000015
	ds_read_b32 v75, v21 offset:15296                          // 00000000767C: D86C3BC0 4B000015
	s_waitcnt lgkmcnt(0)                                       // 000000007684: BF8CC07F
	v_mov_b32_e32 v7, 0                                        // 000000007688: 7E0E0280
	s_mov_b64 exec, s[36:37]                                   // 00000000768C: BEFE0124
	v_mov_b32_e32 v6, v36                                      // 000000007690: 7E0C0324
	s_mov_b64 s[60:61], 0                                      // 000000007694: BEBC0180
	v_readlane_b32 s82, v3, 0                                  // 000000007698: D2890052 00010103
	s_and_b32 s82, s82, 0xffffff                               // 0000000076A0: 8652FF52 00FFFFFF
	s_cmp_lt_u32 s82, s66                                      // 0000000076A8: BF0A4252
	s_cselect_b32 s20, s36, s60                                // 0000000076AC: 85143C24
	v_readlane_b32 s82, v3, 1                                  // 0000000076B0: D2890052 00010303
	s_and_b32 s82, s82, 0xffffff                               // 0000000076B8: 8652FF52 00FFFFFF
	s_cmp_lt_u32 s82, s66                                      // 0000000076C0: BF0A4252
	s_cselect_b32 s21, s36, s60                                // 0000000076C4: 85153C24
	s_mov_b64 exec, s[20:21]                                   // 0000000076C8: BEFE0114
	global_atomic_add_f32 v6, v46, s[8:9] offset:8             // 0000000076CC: DD348008 00082E06
	global_atomic_add_f32 v6, v50, s[8:9] offset:264           // 0000000076D4: DD348108 00083206
	global_atomic_add_f32 v6, v54, s[8:9] offset:520           // 0000000076DC: DD348208 00083606
	global_atomic_add_f32 v6, v58, s[8:9] offset:776           // 0000000076E4: DD348308 00083A06
	s_mov_b64 exec, s[36:37]                                   // 0000000076EC: BEFE0124
	v_mov_b32_e32 v6, v37                                      // 0000000076F0: 7E0C0325
	s_mov_b64 s[60:61], 0                                      // 0000000076F4: BEBC0180
	v_readlane_b32 s82, v3, 2                                  // 0000000076F8: D2890052 00010503
	s_and_b32 s82, s82, 0xffffff                               // 000000007700: 8652FF52 00FFFFFF
	s_cmp_lt_u32 s82, s66                                      // 000000007708: BF0A4252
	s_cselect_b32 s20, s36, s60                                // 00000000770C: 85143C24
	v_readlane_b32 s82, v3, 3                                  // 000000007710: D2890052 00010703
	s_and_b32 s82, s82, 0xffffff                               // 000000007718: 8652FF52 00FFFFFF
	s_cmp_lt_u32 s82, s66                                      // 000000007720: BF0A4252
	s_cselect_b32 s21, s36, s60                                // 000000007724: 85153C24
	s_mov_b64 exec, s[20:21]                                   // 000000007728: BEFE0114
	global_atomic_add_f32 v6, v47, s[8:9] offset:8             // 00000000772C: DD348008 00082F06
	global_atomic_add_f32 v6, v51, s[8:9] offset:264           // 000000007734: DD348108 00083306
	global_atomic_add_f32 v6, v55, s[8:9] offset:520           // 00000000773C: DD348208 00083706
	global_atomic_add_f32 v6, v59, s[8:9] offset:776           // 000000007744: DD348308 00083B06
	s_mov_b64 exec, s[36:37]                                   // 00000000774C: BEFE0124
	v_mov_b32_e32 v6, v38                                      // 000000007750: 7E0C0326
	s_mov_b64 s[60:61], 0                                      // 000000007754: BEBC0180
	v_readlane_b32 s82, v3, 4                                  // 000000007758: D2890052 00010903
	s_and_b32 s82, s82, 0xffffff                               // 000000007760: 8652FF52 00FFFFFF
	s_cmp_lt_u32 s82, s66                                      // 000000007768: BF0A4252
	s_cselect_b32 s20, s36, s60                                // 00000000776C: 85143C24
	v_readlane_b32 s82, v3, 5                                  // 000000007770: D2890052 00010B03
	s_and_b32 s82, s82, 0xffffff                               // 000000007778: 8652FF52 00FFFFFF
	s_cmp_lt_u32 s82, s66                                      // 000000007780: BF0A4252
	s_cselect_b32 s21, s36, s60                                // 000000007784: 85153C24
	s_mov_b64 exec, s[20:21]                                   // 000000007788: BEFE0114
	global_atomic_add_f32 v6, v62, s[8:9] offset:8             // 00000000778C: DD348008 00083E06
	global_atomic_add_f32 v6, v66, s[8:9] offset:264           // 000000007794: DD348108 00084206
	global_atomic_add_f32 v6, v70, s[8:9] offset:520           // 00000000779C: DD348208 00084606
	global_atomic_add_f32 v6, v74, s[8:9] offset:776           // 0000000077A4: DD348308 00084A06
	s_mov_b64 exec, s[36:37]                                   // 0000000077AC: BEFE0124
	v_mov_b32_e32 v6, v39                                      // 0000000077B0: 7E0C0327
	s_mov_b64 s[60:61], 0                                      // 0000000077B4: BEBC0180
	v_readlane_b32 s82, v3, 6                                  // 0000000077B8: D2890052 00010D03
	s_and_b32 s82, s82, 0xffffff                               // 0000000077C0: 8652FF52 00FFFFFF
	s_cmp_lt_u32 s82, s66                                      // 0000000077C8: BF0A4252
	s_cselect_b32 s20, s36, s60                                // 0000000077CC: 85143C24
	v_readlane_b32 s82, v3, 7                                  // 0000000077D0: D2890052 00010F03
	s_and_b32 s82, s82, 0xffffff                               // 0000000077D8: 8652FF52 00FFFFFF
	s_cmp_lt_u32 s82, s66                                      // 0000000077E0: BF0A4252
	s_cselect_b32 s21, s36, s60                                // 0000000077E4: 85153C24
	s_mov_b64 exec, s[20:21]                                   // 0000000077E8: BEFE0114
	global_atomic_add_f32 v6, v63, s[8:9] offset:8             // 0000000077EC: DD348008 00083F06
	global_atomic_add_f32 v6, v67, s[8:9] offset:264           // 0000000077F4: DD348108 00084306
	global_atomic_add_f32 v6, v71, s[8:9] offset:520           // 0000000077FC: DD348208 00084706
	global_atomic_add_f32 v6, v75, s[8:9] offset:776           // 000000007804: DD348308 00084B06
	s_mov_b64 exec, s[36:37]                                   // 00000000780C: BEFE0124
	ds_write_b64 v20, v[76:77]                                 // 000000007810: D89A0000 00004C14
	ds_write_b64 v20, v[80:81] offset:8704                     // 000000007818: D89A2200 00005014
	ds_write_b64 v20, v[84:85] offset:2176                     // 000000007820: D89A0880 00005414
	ds_write_b64 v20, v[88:89] offset:10880                    // 000000007828: D89A2A80 00005814
	ds_write_b64 v20, v[92:93] offset:4352                     // 000000007830: D89A1100 00005C14
	ds_write_b64 v20, v[96:97] offset:13056                    // 000000007838: D89A3300 00006014
	ds_write_b64 v20, v[100:101] offset:6528                   // 000000007840: D89A1980 00006414
	ds_write_b64 v20, v[104:105] offset:15232                  // 000000007848: D89A3B80 00006814
	s_waitcnt lgkmcnt(0)                                       // 000000007850: BF8CC07F
	s_barrier                                                  // 000000007854: BF8A0000
	ds_read_b32 v76, v21                                       // 000000007858: D86C0000 4C000015
	ds_read_b32 v77, v21 offset:64                             // 000000007860: D86C0040 4D000015
	ds_read_b32 v80, v21 offset:2176                           // 000000007868: D86C0880 50000015
	ds_read_b32 v81, v21 offset:2240                           // 000000007870: D86C08C0 51000015
	ds_read_b32 v84, v21 offset:4352                           // 000000007878: D86C1100 54000015
	ds_read_b32 v85, v21 offset:4416                           // 000000007880: D86C1140 55000015
	ds_read_b32 v88, v21 offset:6528                           // 000000007888: D86C1980 58000015
	ds_read_b32 v89, v21 offset:6592                           // 000000007890: D86C19C0 59000015
	ds_read_b32 v92, v21 offset:8704                           // 000000007898: D86C2200 5C000015
	ds_read_b32 v93, v21 offset:8768                           // 0000000078A0: D86C2240 5D000015
	ds_read_b32 v96, v21 offset:10880                          // 0000000078A8: D86C2A80 60000015
	ds_read_b32 v97, v21 offset:10944                          // 0000000078B0: D86C2AC0 61000015
	ds_read_b32 v100, v21 offset:13056                         // 0000000078B8: D86C3300 64000015
	ds_read_b32 v101, v21 offset:13120                         // 0000000078C0: D86C3340 65000015
	ds_read_b32 v104, v21 offset:15232                         // 0000000078C8: D86C3B80 68000015
	ds_read_b32 v105, v21 offset:15296                         // 0000000078D0: D86C3BC0 69000015
	s_mul_i32 s60, s65, 4                                      // 0000000078D8: 923C8441
	s_add_u32 s8, s60, s8                                      // 0000000078DC: 8008083C
	s_addc_u32 s9, 0, s9                                       // 0000000078E0: 82090980
	s_waitcnt lgkmcnt(0)                                       // 0000000078E4: BF8CC07F
	v_mov_b32_e32 v7, 0                                        // 0000000078E8: 7E0E0280
	s_mov_b64 exec, s[36:37]                                   // 0000000078EC: BEFE0124
	v_mov_b32_e32 v6, v36                                      // 0000000078F0: 7E0C0324
	s_mov_b64 s[60:61], 0                                      // 0000000078F4: BEBC0180
	v_readlane_b32 s82, v3, 0                                  // 0000000078F8: D2890052 00010103
	s_and_b32 s82, s82, 0xffffff                               // 000000007900: 8652FF52 00FFFFFF
	s_cmp_lt_u32 s82, s66                                      // 000000007908: BF0A4252
	s_cselect_b32 s20, s36, s60                                // 00000000790C: 85143C24
	v_readlane_b32 s82, v3, 1                                  // 000000007910: D2890052 00010303
	s_and_b32 s82, s82, 0xffffff                               // 000000007918: 8652FF52 00FFFFFF
	s_cmp_lt_u32 s82, s66                                      // 000000007920: BF0A4252
	s_cselect_b32 s21, s36, s60                                // 000000007924: 85153C24
	s_mov_b64 exec, s[20:21]                                   // 000000007928: BEFE0114
	global_atomic_add_f32 v6, v76, s[8:9]                      // 00000000792C: DD348000 00084C06
	global_atomic_add_f32 v6, v80, s[8:9] offset:256           // 000000007934: DD348100 00085006
	global_atomic_add_f32 v6, v84, s[8:9] offset:512           // 00000000793C: DD348200 00085406
	global_atomic_add_f32 v6, v88, s[8:9] offset:768           // 000000007944: DD348300 00085806
	s_mov_b64 exec, s[36:37]                                   // 00000000794C: BEFE0124
	v_mov_b32_e32 v6, v37                                      // 000000007950: 7E0C0325
	s_mov_b64 s[60:61], 0                                      // 000000007954: BEBC0180
	v_readlane_b32 s82, v3, 2                                  // 000000007958: D2890052 00010503
	s_and_b32 s82, s82, 0xffffff                               // 000000007960: 8652FF52 00FFFFFF
	s_cmp_lt_u32 s82, s66                                      // 000000007968: BF0A4252
	s_cselect_b32 s20, s36, s60                                // 00000000796C: 85143C24
	v_readlane_b32 s82, v3, 3                                  // 000000007970: D2890052 00010703
	s_and_b32 s82, s82, 0xffffff                               // 000000007978: 8652FF52 00FFFFFF
	s_cmp_lt_u32 s82, s66                                      // 000000007980: BF0A4252
	s_cselect_b32 s21, s36, s60                                // 000000007984: 85153C24
	s_mov_b64 exec, s[20:21]                                   // 000000007988: BEFE0114
	global_atomic_add_f32 v6, v77, s[8:9]                      // 00000000798C: DD348000 00084D06
	global_atomic_add_f32 v6, v81, s[8:9] offset:256           // 000000007994: DD348100 00085106
	global_atomic_add_f32 v6, v85, s[8:9] offset:512           // 00000000799C: DD348200 00085506
	global_atomic_add_f32 v6, v89, s[8:9] offset:768           // 0000000079A4: DD348300 00085906
	s_mov_b64 exec, s[36:37]                                   // 0000000079AC: BEFE0124
	v_mov_b32_e32 v6, v38                                      // 0000000079B0: 7E0C0326
	s_mov_b64 s[60:61], 0                                      // 0000000079B4: BEBC0180
	v_readlane_b32 s82, v3, 4                                  // 0000000079B8: D2890052 00010903
	s_and_b32 s82, s82, 0xffffff                               // 0000000079C0: 8652FF52 00FFFFFF
	s_cmp_lt_u32 s82, s66                                      // 0000000079C8: BF0A4252
	s_cselect_b32 s20, s36, s60                                // 0000000079CC: 85143C24
	v_readlane_b32 s82, v3, 5                                  // 0000000079D0: D2890052 00010B03
	s_and_b32 s82, s82, 0xffffff                               // 0000000079D8: 8652FF52 00FFFFFF
	s_cmp_lt_u32 s82, s66                                      // 0000000079E0: BF0A4252
	s_cselect_b32 s21, s36, s60                                // 0000000079E4: 85153C24
	s_mov_b64 exec, s[20:21]                                   // 0000000079E8: BEFE0114
	global_atomic_add_f32 v6, v92, s[8:9]                      // 0000000079EC: DD348000 00085C06
	global_atomic_add_f32 v6, v96, s[8:9] offset:256           // 0000000079F4: DD348100 00086006
	global_atomic_add_f32 v6, v100, s[8:9] offset:512          // 0000000079FC: DD348200 00086406
	global_atomic_add_f32 v6, v104, s[8:9] offset:768          // 000000007A04: DD348300 00086806
	s_mov_b64 exec, s[36:37]                                   // 000000007A0C: BEFE0124
	v_mov_b32_e32 v6, v39                                      // 000000007A10: 7E0C0327
	s_mov_b64 s[60:61], 0                                      // 000000007A14: BEBC0180
	v_readlane_b32 s82, v3, 6                                  // 000000007A18: D2890052 00010D03
	s_and_b32 s82, s82, 0xffffff                               // 000000007A20: 8652FF52 00FFFFFF
	s_cmp_lt_u32 s82, s66                                      // 000000007A28: BF0A4252
	s_cselect_b32 s20, s36, s60                                // 000000007A2C: 85143C24
	v_readlane_b32 s82, v3, 7                                  // 000000007A30: D2890052 00010F03
	s_and_b32 s82, s82, 0xffffff                               // 000000007A38: 8652FF52 00FFFFFF
	s_cmp_lt_u32 s82, s66                                      // 000000007A40: BF0A4252
	s_cselect_b32 s21, s36, s60                                // 000000007A44: 85153C24
	s_mov_b64 exec, s[20:21]                                   // 000000007A48: BEFE0114
	global_atomic_add_f32 v6, v93, s[8:9]                      // 000000007A4C: DD348000 00085D06
	global_atomic_add_f32 v6, v97, s[8:9] offset:256           // 000000007A54: DD348100 00086106
	global_atomic_add_f32 v6, v101, s[8:9] offset:512          // 000000007A5C: DD348200 00086506
	global_atomic_add_f32 v6, v105, s[8:9] offset:768          // 000000007A64: DD348300 00086906
	s_mov_b64 exec, s[36:37]                                   // 000000007A6C: BEFE0124
	ds_write_b64 v20, v[78:79]                                 // 000000007A70: D89A0000 00004E14
	ds_write_b64 v20, v[82:83] offset:8704                     // 000000007A78: D89A2200 00005214
	ds_write_b64 v20, v[86:87] offset:2176                     // 000000007A80: D89A0880 00005614
	ds_write_b64 v20, v[90:91] offset:10880                    // 000000007A88: D89A2A80 00005A14
	ds_write_b64 v20, v[94:95] offset:4352                     // 000000007A90: D89A1100 00005E14
	ds_write_b64 v20, v[98:99] offset:13056                    // 000000007A98: D89A3300 00006214
	ds_write_b64 v20, v[102:103] offset:6528                   // 000000007AA0: D89A1980 00006614
	ds_write_b64 v20, v[106:107] offset:15232                  // 000000007AA8: D89A3B80 00006A14
	s_waitcnt lgkmcnt(0)                                       // 000000007AB0: BF8CC07F
	s_barrier                                                  // 000000007AB4: BF8A0000
	ds_read_b32 v78, v21                                       // 000000007AB8: D86C0000 4E000015
	ds_read_b32 v79, v21 offset:64                             // 000000007AC0: D86C0040 4F000015
	ds_read_b32 v82, v21 offset:2176                           // 000000007AC8: D86C0880 52000015
	ds_read_b32 v83, v21 offset:2240                           // 000000007AD0: D86C08C0 53000015
	ds_read_b32 v86, v21 offset:4352                           // 000000007AD8: D86C1100 56000015
	ds_read_b32 v87, v21 offset:4416                           // 000000007AE0: D86C1140 57000015
	ds_read_b32 v90, v21 offset:6528                           // 000000007AE8: D86C1980 5A000015
	ds_read_b32 v91, v21 offset:6592                           // 000000007AF0: D86C19C0 5B000015
	ds_read_b32 v94, v21 offset:8704                           // 000000007AF8: D86C2200 5E000015
	ds_read_b32 v95, v21 offset:8768                           // 000000007B00: D86C2240 5F000015
	ds_read_b32 v98, v21 offset:10880                          // 000000007B08: D86C2A80 62000015
	ds_read_b32 v99, v21 offset:10944                          // 000000007B10: D86C2AC0 63000015
	ds_read_b32 v102, v21 offset:13056                         // 000000007B18: D86C3300 66000015
	ds_read_b32 v103, v21 offset:13120                         // 000000007B20: D86C3340 67000015
	ds_read_b32 v106, v21 offset:15232                         // 000000007B28: D86C3B80 6A000015
	ds_read_b32 v107, v21 offset:15296                         // 000000007B30: D86C3BC0 6B000015
	s_waitcnt lgkmcnt(0)                                       // 000000007B38: BF8CC07F
	v_mov_b32_e32 v7, 0                                        // 000000007B3C: 7E0E0280
	s_mov_b64 exec, s[36:37]                                   // 000000007B40: BEFE0124
	v_mov_b32_e32 v6, v36                                      // 000000007B44: 7E0C0324
	s_mov_b64 s[60:61], 0                                      // 000000007B48: BEBC0180
	v_readlane_b32 s82, v3, 0                                  // 000000007B4C: D2890052 00010103
	s_and_b32 s82, s82, 0xffffff                               // 000000007B54: 8652FF52 00FFFFFF
	s_cmp_lt_u32 s82, s66                                      // 000000007B5C: BF0A4252
	s_cselect_b32 s20, s36, s60                                // 000000007B60: 85143C24
	v_readlane_b32 s82, v3, 1                                  // 000000007B64: D2890052 00010303
	s_and_b32 s82, s82, 0xffffff                               // 000000007B6C: 8652FF52 00FFFFFF
	s_cmp_lt_u32 s82, s66                                      // 000000007B74: BF0A4252
	s_cselect_b32 s21, s36, s60                                // 000000007B78: 85153C24
	s_mov_b64 exec, s[20:21]                                   // 000000007B7C: BEFE0114
	global_atomic_add_f32 v6, v78, s[8:9] offset:8             // 000000007B80: DD348008 00084E06
	global_atomic_add_f32 v6, v82, s[8:9] offset:264           // 000000007B88: DD348108 00085206
	global_atomic_add_f32 v6, v86, s[8:9] offset:520           // 000000007B90: DD348208 00085606
	global_atomic_add_f32 v6, v90, s[8:9] offset:776           // 000000007B98: DD348308 00085A06
	s_mov_b64 exec, s[36:37]                                   // 000000007BA0: BEFE0124
	v_mov_b32_e32 v6, v37                                      // 000000007BA4: 7E0C0325
	s_mov_b64 s[60:61], 0                                      // 000000007BA8: BEBC0180
	v_readlane_b32 s82, v3, 2                                  // 000000007BAC: D2890052 00010503
	s_and_b32 s82, s82, 0xffffff                               // 000000007BB4: 8652FF52 00FFFFFF
	s_cmp_lt_u32 s82, s66                                      // 000000007BBC: BF0A4252
	s_cselect_b32 s20, s36, s60                                // 000000007BC0: 85143C24
	v_readlane_b32 s82, v3, 3                                  // 000000007BC4: D2890052 00010703
	s_and_b32 s82, s82, 0xffffff                               // 000000007BCC: 8652FF52 00FFFFFF
	s_cmp_lt_u32 s82, s66                                      // 000000007BD4: BF0A4252
	s_cselect_b32 s21, s36, s60                                // 000000007BD8: 85153C24
	s_mov_b64 exec, s[20:21]                                   // 000000007BDC: BEFE0114
	global_atomic_add_f32 v6, v79, s[8:9] offset:8             // 000000007BE0: DD348008 00084F06
	global_atomic_add_f32 v6, v83, s[8:9] offset:264           // 000000007BE8: DD348108 00085306
	global_atomic_add_f32 v6, v87, s[8:9] offset:520           // 000000007BF0: DD348208 00085706
	global_atomic_add_f32 v6, v91, s[8:9] offset:776           // 000000007BF8: DD348308 00085B06
	s_mov_b64 exec, s[36:37]                                   // 000000007C00: BEFE0124
	v_mov_b32_e32 v6, v38                                      // 000000007C04: 7E0C0326
	s_mov_b64 s[60:61], 0                                      // 000000007C08: BEBC0180
	v_readlane_b32 s82, v3, 4                                  // 000000007C0C: D2890052 00010903
	s_and_b32 s82, s82, 0xffffff                               // 000000007C14: 8652FF52 00FFFFFF
	s_cmp_lt_u32 s82, s66                                      // 000000007C1C: BF0A4252
	s_cselect_b32 s20, s36, s60                                // 000000007C20: 85143C24
	v_readlane_b32 s82, v3, 5                                  // 000000007C24: D2890052 00010B03
	s_and_b32 s82, s82, 0xffffff                               // 000000007C2C: 8652FF52 00FFFFFF
	s_cmp_lt_u32 s82, s66                                      // 000000007C34: BF0A4252
	s_cselect_b32 s21, s36, s60                                // 000000007C38: 85153C24
	s_mov_b64 exec, s[20:21]                                   // 000000007C3C: BEFE0114
	global_atomic_add_f32 v6, v94, s[8:9] offset:8             // 000000007C40: DD348008 00085E06
	global_atomic_add_f32 v6, v98, s[8:9] offset:264           // 000000007C48: DD348108 00086206
	global_atomic_add_f32 v6, v102, s[8:9] offset:520          // 000000007C50: DD348208 00086606
	global_atomic_add_f32 v6, v106, s[8:9] offset:776          // 000000007C58: DD348308 00086A06
	s_mov_b64 exec, s[36:37]                                   // 000000007C60: BEFE0124
	v_mov_b32_e32 v6, v39                                      // 000000007C64: 7E0C0327
	s_mov_b64 s[60:61], 0                                      // 000000007C68: BEBC0180
	v_readlane_b32 s82, v3, 6                                  // 000000007C6C: D2890052 00010D03
	s_and_b32 s82, s82, 0xffffff                               // 000000007C74: 8652FF52 00FFFFFF
	s_cmp_lt_u32 s82, s66                                      // 000000007C7C: BF0A4252
	s_cselect_b32 s20, s36, s60                                // 000000007C80: 85143C24
	v_readlane_b32 s82, v3, 7                                  // 000000007C84: D2890052 00010F03
	s_and_b32 s82, s82, 0xffffff                               // 000000007C8C: 8652FF52 00FFFFFF
	s_cmp_lt_u32 s82, s66                                      // 000000007C94: BF0A4252
	s_cselect_b32 s21, s36, s60                                // 000000007C98: 85153C24
	s_mov_b64 exec, s[20:21]                                   // 000000007C9C: BEFE0114
	global_atomic_add_f32 v6, v95, s[8:9] offset:8             // 000000007CA0: DD348008 00085F06
	global_atomic_add_f32 v6, v99, s[8:9] offset:264           // 000000007CA8: DD348108 00086306
	global_atomic_add_f32 v6, v103, s[8:9] offset:520          // 000000007CB0: DD348208 00086706
	global_atomic_add_f32 v6, v107, s[8:9] offset:776          // 000000007CB8: DD348308 00086B06
	s_mov_b64 exec, s[36:37]                                   // 000000007CC0: BEFE0124
	s_branch label_14B5                                        // 000000007CC4: BF820000

0000000000007cc8 <label_14B5>:
	s_waitcnt vmcnt(0) expcnt(0) lgkmcnt(0)                    // 000000007CC8: BF8C0000
	s_endpgm                                                   // 000000007CCC: BF810000
